;; amdgpu-corpus repo=ROCm/rocFFT kind=compiled arch=gfx950 opt=O3
	.text
	.amdgcn_target "amdgcn-amd-amdhsa--gfx950"
	.amdhsa_code_object_version 6
	.protected	bluestein_single_back_len17_dim1_half_op_CI_CI ; -- Begin function bluestein_single_back_len17_dim1_half_op_CI_CI
	.globl	bluestein_single_back_len17_dim1_half_op_CI_CI
	.p2align	8
	.type	bluestein_single_back_len17_dim1_half_op_CI_CI,@function
bluestein_single_back_len17_dim1_half_op_CI_CI: ; @bluestein_single_back_len17_dim1_half_op_CI_CI
; %bb.0:
	s_load_dwordx4 s[12:15], s[0:1], 0x28
	s_mulk_i32 s2, 0x78
	v_add_u32_e32 v20, s2, v0
	v_mov_b32_e32 v21, 0
	s_movk_i32 s16, 0x78
	s_waitcnt lgkmcnt(0)
	v_cmp_gt_u64_e32 vcc, s[12:13], v[20:21]
	s_and_saveexec_b64 s[2:3], vcc
	s_cbranch_execz .LBB0_2
; %bb.1:
	s_load_dwordx4 s[4:7], s[0:1], 0x18
	s_load_dwordx2 s[2:3], s[0:1], 0x0
	v_mov_b32_e32 v0, s14
	v_mov_b32_e32 v1, s15
	;; [unrolled: 1-line block ×3, first 2 shown]
	s_waitcnt lgkmcnt(0)
	s_load_dwordx4 s[8:11], s[4:5], 0x0
	global_load_dwordx4 v[16:19], v21, s[2:3]
	s_mov_b32 s12, 0xffff
	s_mov_b32 s13, 0xb461
	s_mov_b32 s23, 0xb964
	s_waitcnt lgkmcnt(0)
	v_mad_u64_u32 v[2:3], s[4:5], s10, v20, 0
	v_mov_b32_e32 v4, v3
	v_mad_u64_u32 v[4:5], s[4:5], s11, v20, v[4:5]
	v_mov_b32_e32 v3, v4
	v_lshl_add_u64 v[0:1], v[2:3], 2, v[0:1]
	v_mad_u64_u32 v[4:5], s[4:5], s8, 12, v[0:1]
	v_mov_b32_e32 v6, v5
	v_mad_u64_u32 v[6:7], s[4:5], s9, 12, v[6:7]
	v_lshl_add_u64 v[2:3], s[8:9], 2, v[0:1]
	global_load_dword v33, v[0:1], off
	global_load_dword v35, v[2:3], off
	v_mov_b32_e32 v5, v6
	v_lshl_add_u64 v[2:3], s[8:9], 3, v[0:1]
	global_load_dword v37, v[4:5], off
	global_load_dword v39, v[2:3], off
	s_mov_b32 s4, 0x88888889
	v_mul_hi_u32 v2, v20, s4
	v_lshrrev_b32_e32 v2, 6, v2
	v_mul_lo_u32 v2, v2, s16
	s_lshl_b64 s[10:11], s[8:9], 5
	v_sub_u32_e32 v2, v20, v2
	v_mad_u64_u32 v[4:5], s[16:17], s8, 20, v[0:1]
	v_lshl_add_u64 v[10:11], v[0:1], 0, s[10:11]
	v_mad_u64_u32 v[22:23], s[10:11], s8, 56, v[0:1]
	v_mul_u32_u24_e32 v36, 0x44, v2
	s_lshl_b64 s[14:15], s[8:9], 6
	v_lshl_add_u64 v[2:3], s[8:9], 4, v[0:1]
	v_mad_u64_u32 v[6:7], s[16:17], s8, 24, v[0:1]
	v_mad_u64_u32 v[8:9], s[16:17], s8, 28, v[0:1]
	;; [unrolled: 1-line block ×3, first 2 shown]
	v_mov_b32_e32 v28, v5
	v_mov_b32_e32 v34, v23
	s_load_dwordx4 s[4:7], s[6:7], 0x0
	global_load_dwordx4 v[12:15], v21, s[2:3] offset:16
	v_lshl_add_u64 v[26:27], v[0:1], 0, s[14:15]
	v_mov_b32_e32 v30, v7
	v_mov_b32_e32 v32, v9
	;; [unrolled: 1-line block ×3, first 2 shown]
	global_load_dword v40, v[2:3], off
	global_load_dword v46, v[10:11], off
	;; [unrolled: 1-line block ×3, first 2 shown]
	v_mad_u64_u32 v[2:3], s[10:11], s9, 20, v[28:29]
	v_mad_u64_u32 v[10:11], s[10:11], s9, 24, v[30:31]
	v_mov_b32_e32 v5, v2
	v_mov_b32_e32 v7, v10
	s_mov_b32 s14, 0xb8d2
	s_mov_b32 s16, 0xbbdd
	;; [unrolled: 1-line block ×3, first 2 shown]
	s_movk_i32 s25, 0x3964
	s_mov_b32 s20, 0xbb29
	s_movk_i32 s21, 0x3b29
	s_mov_b32 s30, 0xbbf7
	;; [unrolled: 2-line block ×6, first 2 shown]
	s_movk_i32 s29, 0x35c8
	s_load_dwordx2 s[0:1], s[0:1], 0x38
	s_waitcnt vmcnt(8)
	v_lshrrev_b32_e32 v44, 16, v17
	v_and_b32_e32 v2, 0xffff, v16
	v_and_b32_sdwa v3, v45, v16 dst_sel:DWORD dst_unused:UNUSED_PAD src0_sel:DWORD src1_sel:WORD_1
	v_lshl_or_b32 v2, v17, 16, v2
	v_lshl_or_b32 v3, v44, 16, v3
	v_lshrrev_b32_e32 v43, 16, v19
	s_waitcnt vmcnt(7)
	v_mad_u64_u32 v[26:27], s[10:11], s9, 28, v[32:33]
	s_waitcnt vmcnt(6)
	v_mad_u64_u32 v[28:29], s[10:11], s9, 56, v[34:35]
	;; [unrolled: 2-line block ×3, first 2 shown]
	v_mov_b32_e32 v23, v28
	v_mov_b32_e32 v9, v26
	;; [unrolled: 1-line block ×3, first 2 shown]
	global_load_dword v26, v[22:23], off
	global_load_dword v27, v[24:25], off
	global_load_dword v28, v[4:5], off
	s_nop 0
	global_load_dword v24, v[6:7], off
	global_load_dword v25, v[8:9], off
	v_bfi_b32 v10, s12, v33, v35
	v_alignbit_b32 v11, v35, v33, 16
	v_mul_f16_sdwa v4, v16, v33 dst_sel:DWORD dst_unused:UNUSED_PAD src0_sel:WORD_1 src1_sel:WORD_1
	v_lshrrev_b32_e32 v5, 16, v35
	v_mul_f16_e32 v22, v44, v35
	v_pk_mul_f16 v23, v2, v11
	v_pk_mul_f16 v3, v3, v10
	v_fma_f16 v4, v16, v33, v4
	v_fma_f16 v5, v17, v5, -v22
	v_pk_fma_f16 v2, v2, v11, v3
	v_sub_f16_e32 v3, v23, v3
	v_alignbit_b32 v2, v5, v2, 16
	v_pack_b32_f16 v3, v4, v3
	ds_write2_b32 v36, v3, v2 offset1:1
	v_mul_f16_sdwa v2, v18, v39 dst_sel:DWORD dst_unused:UNUSED_PAD src0_sel:WORD_1 src1_sel:WORD_1
	v_fma_f16 v23, v18, v39, v2
	v_and_b32_e32 v2, 0xffff, v18
	v_lshl_or_b32 v29, v19, 16, v2
	v_mad_u64_u32 v[2:3], s[10:11], s8, 36, v[0:1]
	v_mov_b32_e32 v4, v3
	v_mad_u64_u32 v[4:5], s[10:11], s9, 36, v[4:5]
	v_and_b32_sdwa v31, v45, v18 dst_sel:DWORD dst_unused:UNUSED_PAD src0_sel:DWORD src1_sel:WORD_1
	v_mov_b32_e32 v3, v4
	v_bfi_b32 v6, s12, v39, v37
	global_load_dword v32, v[2:3], off
	v_lshl_or_b32 v2, v43, 16, v31
	v_pk_mul_f16 v31, v2, v6
	v_mad_u64_u32 v[2:3], s[10:11], s8, 40, v[0:1]
	global_load_dwordx4 v[8:11], v21, s[2:3] offset:32
	v_mov_b32_e32 v4, v3
	v_mad_u64_u32 v[4:5], s[10:11], s9, 40, v[4:5]
	v_mov_b32_e32 v3, v4
	v_mad_u64_u32 v[4:5], s[10:11], s8, 44, v[0:1]
	v_alignbit_b32 v7, v37, v39, 16
	v_mov_b32_e32 v6, v5
	v_lshrrev_b32_e32 v22, 16, v37
	v_pk_mul_f16 v30, v29, v7
	v_pk_fma_f16 v29, v29, v7, v31
	v_mul_f16_e32 v33, v43, v37
	v_mad_u64_u32 v[6:7], s[10:11], s9, 44, v[6:7]
	v_mov_b32_e32 v5, v6
	global_load_dword v34, v[2:3], off
	global_load_dword v35, v[4:5], off
	v_fma_f16 v2, v19, v22, -v33
	v_sub_f16_e32 v3, v30, v31
	v_alignbit_b32 v2, v2, v29, 16
	v_pack_b32_f16 v3, v23, v3
	ds_write2_b32 v36, v3, v2 offset0:2 offset1:3
	v_mad_u64_u32 v[2:3], s[10:11], s8, 48, v[0:1]
	v_mov_b32_e32 v4, v3
	v_mad_u64_u32 v[0:1], s[10:11], s8, 52, v[0:1]
	v_mad_u64_u32 v[4:5], s[10:11], s9, 48, v[4:5]
	v_mov_b32_e32 v22, v1
	v_mov_b32_e32 v3, v4
	global_load_dwordx4 v[4:7], v21, s[2:3] offset:48
	v_mad_u64_u32 v[22:23], s[8:9], s9, 52, v[22:23]
	v_mov_b32_e32 v1, v22
	global_load_dword v22, v[2:3], off
	global_load_dword v23, v[0:1], off
	s_waitcnt vmcnt(15)
	v_lshrrev_b32_e32 v42, 16, v13
	v_and_b32_e32 v29, 0xffff, v12
	v_and_b32_sdwa v31, v45, v12 dst_sel:DWORD dst_unused:UNUSED_PAD src0_sel:DWORD src1_sel:WORD_1
	v_lshl_or_b32 v29, v13, 16, v29
	v_lshl_or_b32 v31, v42, 16, v31
	s_waitcnt vmcnt(14)
	v_mul_f16_sdwa v3, v12, v40 dst_sel:DWORD dst_unused:UNUSED_PAD src0_sel:WORD_1 src1_sel:WORD_1
	v_fma_f16 v3, v12, v40, v3
	v_lshrrev_b32_e32 v41, 16, v15
	s_movk_i32 s11, 0x3b76
	s_movk_i32 s9, 0x39e9
	s_movk_i32 s8, 0x2de8
	s_waitcnt vmcnt(9)
	v_bfi_b32 v1, s12, v40, v28
	v_alignbit_b32 v2, v28, v40, 16
	v_lshrrev_b32_e32 v0, 16, v28
	v_pk_mul_f16 v30, v29, v2
	v_pk_mul_f16 v1, v31, v1
	v_mul_f16_e32 v28, v42, v28
	v_pk_fma_f16 v2, v29, v2, v1
	v_fma_f16 v0, v13, v0, -v28
	v_sub_f16_e32 v1, v30, v1
	v_alignbit_b32 v0, v0, v2, 16
	v_pack_b32_f16 v1, v3, v1
	s_waitcnt vmcnt(8)
	v_mul_f16_sdwa v3, v14, v24 dst_sel:DWORD dst_unused:UNUSED_PAD src0_sel:WORD_1 src1_sel:WORD_1
	v_and_b32_sdwa v29, v45, v14 dst_sel:DWORD dst_unused:UNUSED_PAD src0_sel:DWORD src1_sel:WORD_1
	ds_write2_b32 v36, v1, v0 offset0:4 offset1:5
	s_waitcnt vmcnt(7)
	v_bfi_b32 v1, s12, v24, v25
	v_alignbit_b32 v2, v25, v24, 16
	v_fma_f16 v24, v14, v24, v3
	v_and_b32_e32 v3, 0xffff, v14
	v_lshl_or_b32 v29, v41, 16, v29
	v_lshl_or_b32 v3, v15, 16, v3
	v_pk_mul_f16 v1, v29, v1
	v_lshrrev_b32_e32 v0, 16, v25
	v_pk_mul_f16 v28, v3, v2
	v_pk_fma_f16 v2, v3, v2, v1
	v_mul_f16_e32 v3, v41, v25
	v_fma_f16 v0, v15, v0, -v3
	v_sub_f16_e32 v25, v28, v1
	v_alignbit_b32 v28, v0, v2, 16
	global_load_dwordx4 v[0:3], v21, s[2:3] offset:64
	v_pack_b32_f16 v24, v24, v25
	s_waitcnt vmcnt(7)
	v_bfi_b32 v25, s12, v46, v32
	ds_write2_b32 v36, v24, v28 offset0:6 offset1:7
	v_alignbit_b32 v28, v32, v46, 16
	s_waitcnt vmcnt(6)
	v_lshrrev_b32_e32 v40, 16, v9
	v_and_b32_sdwa v33, v45, v8 dst_sel:DWORD dst_unused:UNUSED_PAD src0_sel:DWORD src1_sel:WORD_1
	v_and_b32_e32 v30, 0xffff, v8
	v_lshl_or_b32 v33, v40, 16, v33
	v_lshl_or_b32 v30, v9, 16, v30
	v_pk_mul_f16 v25, v33, v25
	v_lshrrev_b32_e32 v24, 16, v32
	v_mul_f16_sdwa v29, v8, v46 dst_sel:DWORD dst_unused:UNUSED_PAD src0_sel:WORD_1 src1_sel:WORD_1
	v_pk_mul_f16 v31, v30, v28
	v_pk_fma_f16 v28, v30, v28, v25
	v_mul_f16_e32 v30, v40, v32
	v_fma_f16 v29, v8, v46, v29
	v_fma_f16 v24, v9, v24, -v30
	v_sub_f16_e32 v25, v31, v25
	v_lshrrev_b32_e32 v39, 16, v11
	v_alignbit_b32 v24, v24, v28, 16
	v_pack_b32_f16 v25, v29, v25
	v_and_b32_sdwa v32, v45, v10 dst_sel:DWORD dst_unused:UNUSED_PAD src0_sel:DWORD src1_sel:WORD_1
	ds_write2_b32 v36, v25, v24 offset0:8 offset1:9
	s_waitcnt vmcnt(4)
	v_bfi_b32 v25, s12, v34, v35
	v_and_b32_e32 v30, 0xffff, v10
	v_lshl_or_b32 v32, v39, 16, v32
	v_alignbit_b32 v28, v35, v34, 16
	v_lshl_or_b32 v30, v11, 16, v30
	v_pk_mul_f16 v25, v32, v25
	v_lshrrev_b32_e32 v24, 16, v35
	v_mul_f16_sdwa v29, v10, v34 dst_sel:DWORD dst_unused:UNUSED_PAD src0_sel:WORD_1 src1_sel:WORD_1
	v_pk_mul_f16 v31, v30, v28
	v_pk_fma_f16 v28, v30, v28, v25
	v_mul_f16_e32 v30, v39, v35
	v_fma_f16 v29, v10, v34, v29
	v_fma_f16 v24, v11, v24, -v30
	v_sub_f16_e32 v25, v31, v25
	v_alignbit_b32 v24, v24, v28, 16
	v_pack_b32_f16 v25, v29, v25
	s_waitcnt vmcnt(2)
	v_mul_f16_sdwa v29, v4, v22 dst_sel:DWORD dst_unused:UNUSED_PAD src0_sel:WORD_1 src1_sel:WORD_1
	ds_write2_b32 v36, v25, v24 offset0:10 offset1:11
	v_lshrrev_b32_e32 v38, 16, v5
	s_waitcnt vmcnt(1)
	v_bfi_b32 v25, s12, v22, v23
	v_alignbit_b32 v28, v23, v22, 16
	v_fma_f16 v22, v4, v22, v29
	v_and_b32_e32 v29, 0xffff, v4
	v_and_b32_sdwa v31, v45, v4 dst_sel:DWORD dst_unused:UNUSED_PAD src0_sel:DWORD src1_sel:WORD_1
	v_lshl_or_b32 v29, v5, 16, v29
	v_lshl_or_b32 v31, v38, 16, v31
	v_lshrrev_b32_e32 v24, 16, v23
	v_pk_mul_f16 v30, v29, v28
	v_pk_mul_f16 v25, v31, v25
	v_mul_f16_e32 v23, v38, v23
	v_pk_fma_f16 v28, v29, v28, v25
	v_fma_f16 v23, v5, v24, -v23
	v_sub_f16_e32 v24, v30, v25
	v_lshrrev_b32_e32 v37, 16, v7
	v_alignbit_b32 v23, v23, v28, 16
	v_pack_b32_f16 v22, v22, v24
	v_mul_f16_sdwa v25, v6, v26 dst_sel:DWORD dst_unused:UNUSED_PAD src0_sel:WORD_1 src1_sel:WORD_1
	v_and_b32_sdwa v29, v45, v6 dst_sel:DWORD dst_unused:UNUSED_PAD src0_sel:DWORD src1_sel:WORD_1
	ds_write2_b32 v36, v22, v23 offset0:12 offset1:13
	v_bfi_b32 v23, s12, v26, v27
	v_alignbit_b32 v24, v27, v26, 16
	v_fma_f16 v25, v6, v26, v25
	v_and_b32_e32 v26, 0xffff, v6
	v_lshl_or_b32 v29, v37, 16, v29
	v_lshl_or_b32 v26, v7, 16, v26
	v_pk_mul_f16 v23, v29, v23
	v_lshrrev_b32_e32 v22, 16, v27
	v_pk_mul_f16 v28, v26, v24
	v_pk_fma_f16 v24, v26, v24, v23
	v_mul_f16_e32 v26, v37, v27
	v_fma_f16 v22, v7, v22, -v26
	v_sub_f16_e32 v23, v28, v23
	v_alignbit_b32 v22, v22, v24, 16
	v_pack_b32_f16 v23, v25, v23
	ds_write2_b32 v36, v23, v22 offset0:14 offset1:15
	v_lshrrev_b32_e32 v22, 16, v47
	s_waitcnt vmcnt(0)
	v_mul_f16_sdwa v23, v0, v22 dst_sel:DWORD dst_unused:UNUSED_PAD src0_sel:WORD_1 src1_sel:DWORD
	v_mul_f16_sdwa v24, v0, v47 dst_sel:DWORD dst_unused:UNUSED_PAD src0_sel:WORD_1 src1_sel:DWORD
	v_fma_f16 v23, v0, v47, v23
	v_fma_f16 v22, v0, v22, -v24
	v_pack_b32_f16 v22, v23, v22
	ds_write_b32 v36, v22 offset:64
	s_waitcnt lgkmcnt(0)
	s_barrier
	ds_read_b32 v45, v36
	ds_read2_b32 v[22:23], v36 offset0:1 offset1:2
	ds_read2_b32 v[26:27], v36 offset0:3 offset1:4
	;; [unrolled: 1-line block ×7, first 2 shown]
	s_waitcnt lgkmcnt(6)
	v_add_f16_e32 v46, v22, v45
	v_add_f16_sdwa v47, v22, v45 dst_sel:DWORD dst_unused:UNUSED_PAD src0_sel:WORD_1 src1_sel:WORD_1
	v_add_f16_e32 v46, v46, v23
	v_add_f16_sdwa v47, v47, v23 dst_sel:DWORD dst_unused:UNUSED_PAD src0_sel:DWORD src1_sel:WORD_1
	s_waitcnt lgkmcnt(5)
	v_add_f16_e32 v46, v46, v26
	v_add_f16_sdwa v47, v47, v26 dst_sel:DWORD dst_unused:UNUSED_PAD src0_sel:DWORD src1_sel:WORD_1
	v_add_f16_e32 v46, v46, v27
	v_add_f16_sdwa v47, v47, v27 dst_sel:DWORD dst_unused:UNUSED_PAD src0_sel:DWORD src1_sel:WORD_1
	s_waitcnt lgkmcnt(4)
	v_add_f16_e32 v46, v46, v32
	v_add_f16_sdwa v47, v47, v32 dst_sel:DWORD dst_unused:UNUSED_PAD src0_sel:DWORD src1_sel:WORD_1
	;; [unrolled: 5-line block ×5, first 2 shown]
	v_add_f16_e32 v56, v46, v35
	v_add_f16_sdwa v57, v47, v35 dst_sel:DWORD dst_unused:UNUSED_PAD src0_sel:DWORD src1_sel:WORD_1
	s_waitcnt lgkmcnt(0)
	v_add_f16_e32 v46, v25, v26
	v_add_f16_e32 v48, v35, v32
	v_add_f16_sdwa v47, v35, v32 dst_sel:DWORD dst_unused:UNUSED_PAD src0_sel:WORD_1 src1_sel:WORD_1
	v_sub_f16_e32 v49, v32, v35
	v_sub_f16_sdwa v32, v32, v35 dst_sel:DWORD dst_unused:UNUSED_PAD src0_sel:WORD_1 src1_sel:WORD_1
	v_add_f16_e32 v50, v34, v33
	v_add_f16_sdwa v35, v34, v33 dst_sel:DWORD dst_unused:UNUSED_PAD src0_sel:WORD_1 src1_sel:WORD_1
	v_sub_f16_e32 v51, v33, v34
	v_sub_f16_sdwa v33, v33, v34 dst_sel:DWORD dst_unused:UNUSED_PAD src0_sel:WORD_1 src1_sel:WORD_1
	;; [unrolled: 4-line block ×4, first 2 shown]
	v_add_f16_sdwa v30, v25, v26 dst_sel:DWORD dst_unused:UNUSED_PAD src0_sel:WORD_1 src1_sel:WORD_1
	v_sub_f16_e32 v58, v26, v25
	v_sub_f16_sdwa v59, v26, v25 dst_sel:DWORD dst_unused:UNUSED_PAD src0_sel:WORD_1 src1_sel:WORD_1
	v_add_f16_e32 v60, v24, v27
	v_add_f16_sdwa v61, v24, v27 dst_sel:DWORD dst_unused:UNUSED_PAD src0_sel:WORD_1 src1_sel:WORD_1
	v_sub_f16_e32 v62, v27, v24
	v_sub_f16_sdwa v63, v27, v24 dst_sel:DWORD dst_unused:UNUSED_PAD src0_sel:WORD_1 src1_sel:WORD_1
	ds_read2_b32 v[26:27], v36 offset0:15 offset1:16
	v_add_f16_e32 v56, v56, v24
	v_add_f16_sdwa v24, v57, v24 dst_sel:DWORD dst_unused:UNUSED_PAD src0_sel:DWORD src1_sel:WORD_1
	v_add_f16_e32 v56, v56, v25
	v_add_f16_sdwa v24, v24, v25 dst_sel:DWORD dst_unused:UNUSED_PAD src0_sel:DWORD src1_sel:WORD_1
	s_waitcnt lgkmcnt(0)
	v_sub_f16_sdwa v66, v22, v27 dst_sel:DWORD dst_unused:UNUSED_PAD src0_sel:WORD_1 src1_sel:WORD_1
	v_add_f16_e32 v57, v27, v22
	v_add_f16_sdwa v64, v27, v22 dst_sel:DWORD dst_unused:UNUSED_PAD src0_sel:WORD_1 src1_sel:WORD_1
	v_sub_f16_e32 v65, v22, v27
	v_sub_f16_sdwa v70, v23, v26 dst_sel:DWORD dst_unused:UNUSED_PAD src0_sel:WORD_1 src1_sel:WORD_1
	v_add_f16_e32 v22, v56, v26
	v_mul_f16_e32 v56, 0xb5c8, v66
	v_add_f16_e32 v67, v26, v23
	v_add_f16_sdwa v68, v26, v23 dst_sel:DWORD dst_unused:UNUSED_PAD src0_sel:WORD_1 src1_sel:WORD_1
	v_sub_f16_e32 v69, v23, v26
	v_add_f16_sdwa v23, v24, v26 dst_sel:DWORD dst_unused:UNUSED_PAD src0_sel:DWORD src1_sel:WORD_1
	v_add_f16_e32 v26, v22, v27
	v_fma_f16 v22, v57, s11, -v56
	v_mul_f16_e32 v71, 0xb964, v70
	v_add_f16_sdwa v27, v23, v27 dst_sel:WORD_1 dst_unused:UNUSED_PAD src0_sel:DWORD src1_sel:WORD_1
	v_add_f16_e32 v22, v22, v45
	v_fma_f16 v23, v67, s9, -v71
	v_mul_f16_e32 v72, 0xb5c8, v65
	v_add_f16_e32 v22, v23, v22
	v_fma_f16 v23, v64, s11, v72
	v_mul_f16_e32 v73, 0xb964, v69
	v_add_f16_sdwa v23, v23, v45 dst_sel:DWORD dst_unused:UNUSED_PAD src0_sel:DWORD src1_sel:WORD_1
	v_fma_f16 v24, v68, s9, v73
	v_mul_f16_e32 v74, 0xb964, v66
	v_add_f16_e32 v23, v24, v23
	v_fma_f16 v24, v57, s9, -v74
	v_mul_f16_e32 v75, 0xbbf7, v70
	v_add_f16_e32 v24, v24, v45
	v_fma_f16 v25, v67, s8, -v75
	v_mul_f16_e32 v76, 0xb964, v65
	v_add_f16_e32 v24, v25, v24
	v_fma_f16 v25, v64, s9, v76
	v_mul_f16_e32 v77, 0xbbf7, v69
	v_add_f16_sdwa v25, v25, v45 dst_sel:DWORD dst_unused:UNUSED_PAD src0_sel:DWORD src1_sel:WORD_1
	v_fma_f16 v78, v68, s8, v77
	v_add_f16_e32 v25, v78, v25
	s_movk_i32 s10, 0x3722
	v_mul_f16_e32 v78, 0xbb29, v59
	v_fma_f16 v79, v46, s10, -v78
	v_add_f16_e32 v22, v79, v22
	v_mul_f16_e32 v79, 0xbb29, v58
	v_fma_f16 v80, v30, s10, v79
	v_add_f16_e32 v23, v80, v23
	v_mul_f16_e32 v80, 0xba62, v59
	v_fma_f16 v81, v46, s14, -v80
	v_add_f16_e32 v24, v81, v24
	v_mul_f16_e32 v81, 0xba62, v58
	v_fma_f16 v82, v30, s14, v81
	v_add_f16_e32 v25, v82, v25
	;; [unrolled: 6-line block ×8, first 2 shown]
	v_mul_f16_e32 v94, 0xb836, v28
	v_fma_f16 v95, v52, s15, -v94
	v_mul_f16_e32 v96, 0xb836, v53
	v_add_f16_e32 v95, v95, v22
	v_fma_f16 v22, v34, s15, v96
	v_mul_f16_e32 v98, 0x3b29, v28
	v_add_f16_e32 v97, v22, v23
	v_fma_f16 v22, v52, s10, -v98
	v_mul_f16_e32 v100, 0x3b29, v53
	v_add_f16_e32 v99, v22, v24
	v_fma_f16 v22, v34, s10, v100
	v_add_f16_e32 v101, v22, v25
	v_mul_f16_e32 v22, 0xb1e1, v29
	v_fma_f16 v23, v54, s16, -v22
	v_add_f16_e32 v95, v23, v95
	v_mul_f16_e32 v23, 0xb1e1, v55
	v_fma_f16 v24, v31, s16, v23
	v_add_f16_e32 v97, v24, v97
	v_mul_f16_e32 v24, 0x35c8, v29
	v_fma_f16 v25, v54, s11, -v24
	v_add_f16_e32 v99, v25, v99
	v_mul_f16_e32 v25, 0x35c8, v55
	v_fma_f16 v102, v31, s11, v25
	v_add_f16_e32 v101, v102, v101
	v_pack_b32_f16 v99, v99, v101
	v_pack_b32_f16 v95, v95, v97
	v_or_b32_e32 v26, v27, v26
	v_fma_f16 v27, v57, s11, v56
	v_fma_f16 v56, v57, s9, v74
	v_mul_f16_e32 v74, 0xbb29, v66
	v_mul_f16_e32 v97, 0xbbf7, v66
	;; [unrolled: 1-line block ×6, first 2 shown]
	ds_write2_b32 v36, v95, v99 offset0:1 offset1:2
	v_fma_f16 v95, v57, s10, -v74
	v_fma_f16 v74, v57, s10, v74
	v_fma_f16 v99, v57, s8, -v97
	v_fma_f16 v97, v57, s8, v97
	;; [unrolled: 2-line block ×6, first 2 shown]
	v_fma_f16 v66, v64, s11, -v72
	v_fma_f16 v72, v64, s9, -v76
	v_mul_f16_e32 v76, 0xbb29, v65
	v_mul_f16_e32 v109, 0xbbf7, v65
	;; [unrolled: 1-line block ×6, first 2 shown]
	v_fma_f16 v108, v64, s10, v76
	v_fma_f16 v76, v64, s10, -v76
	v_fma_f16 v110, v64, s8, v109
	v_fma_f16 v109, v64, s8, -v109
	;; [unrolled: 2-line block ×6, first 2 shown]
	v_add_f16_e32 v27, v27, v45
	v_add_f16_sdwa v65, v66, v45 dst_sel:DWORD dst_unused:UNUSED_PAD src0_sel:DWORD src1_sel:WORD_1
	v_add_f16_e32 v56, v56, v45
	v_add_f16_sdwa v66, v72, v45 dst_sel:DWORD dst_unused:UNUSED_PAD src0_sel:DWORD src1_sel:WORD_1
	v_add_f16_e32 v72, v95, v45
	v_add_f16_sdwa v95, v108, v45 dst_sel:DWORD dst_unused:UNUSED_PAD src0_sel:DWORD src1_sel:WORD_1
	v_add_f16_e32 v74, v74, v45
	v_add_f16_sdwa v76, v76, v45 dst_sel:DWORD dst_unused:UNUSED_PAD src0_sel:DWORD src1_sel:WORD_1
	v_add_f16_e32 v99, v99, v45
	v_add_f16_sdwa v108, v110, v45 dst_sel:DWORD dst_unused:UNUSED_PAD src0_sel:DWORD src1_sel:WORD_1
	v_add_f16_e32 v97, v97, v45
	v_add_f16_sdwa v109, v109, v45 dst_sel:DWORD dst_unused:UNUSED_PAD src0_sel:DWORD src1_sel:WORD_1
	v_add_f16_e32 v102, v102, v45
	v_add_f16_sdwa v110, v112, v45 dst_sel:DWORD dst_unused:UNUSED_PAD src0_sel:DWORD src1_sel:WORD_1
	v_add_f16_e32 v101, v101, v45
	v_add_f16_sdwa v111, v111, v45 dst_sel:DWORD dst_unused:UNUSED_PAD src0_sel:DWORD src1_sel:WORD_1
	v_add_f16_e32 v104, v104, v45
	v_add_f16_sdwa v112, v114, v45 dst_sel:DWORD dst_unused:UNUSED_PAD src0_sel:DWORD src1_sel:WORD_1
	v_add_f16_e32 v103, v103, v45
	v_add_f16_sdwa v113, v113, v45 dst_sel:DWORD dst_unused:UNUSED_PAD src0_sel:DWORD src1_sel:WORD_1
	v_add_f16_e32 v106, v106, v45
	v_add_f16_sdwa v114, v116, v45 dst_sel:DWORD dst_unused:UNUSED_PAD src0_sel:DWORD src1_sel:WORD_1
	v_add_f16_e32 v105, v105, v45
	v_add_f16_sdwa v115, v115, v45 dst_sel:DWORD dst_unused:UNUSED_PAD src0_sel:DWORD src1_sel:WORD_1
	v_add_f16_e32 v107, v107, v45
	v_add_f16_sdwa v116, v117, v45 dst_sel:DWORD dst_unused:UNUSED_PAD src0_sel:DWORD src1_sel:WORD_1
	v_add_f16_e32 v57, v57, v45
	v_add_f16_sdwa v45, v64, v45 dst_sel:DWORD dst_unused:UNUSED_PAD src0_sel:DWORD src1_sel:WORD_1
	v_fma_f16 v64, v67, s9, v71
	v_add_f16_e32 v27, v64, v27
	v_fma_f16 v64, v68, s9, -v73
	v_add_f16_e32 v64, v64, v65
	v_fma_f16 v65, v67, s8, v75
	v_add_f16_e32 v56, v65, v56
	v_fma_f16 v65, v68, s8, -v77
	v_add_f16_e32 v65, v65, v66
	v_mul_f16_e32 v66, 0xba62, v70
	v_fma_f16 v71, v67, s14, -v66
	v_add_f16_e32 v71, v71, v72
	v_mul_f16_e32 v72, 0xba62, v69
	v_fma_f16 v66, v67, s14, v66
	v_fma_f16 v73, v68, s14, v72
	v_add_f16_e32 v66, v66, v74
	v_mul_f16_e32 v74, 0xb1e1, v70
	v_add_f16_e32 v73, v73, v95
	v_fma_f16 v72, v68, s14, -v72
	v_fma_f16 v75, v67, s16, -v74
	v_fma_f16 v74, v67, s16, v74
	v_mul_f16_e32 v95, 0x3836, v70
	v_add_f16_e32 v72, v72, v76
	v_mul_f16_e32 v76, 0xb1e1, v69
	v_add_f16_e32 v74, v74, v97
	v_fma_f16 v97, v67, s15, -v95
	v_fma_f16 v95, v67, s15, v95
	v_fma_f16 v77, v68, s16, v76
	v_add_f16_e32 v95, v95, v101
	v_mul_f16_e32 v101, 0x3bb2, v70
	v_add_f16_e32 v77, v77, v108
	v_fma_f16 v108, v67, s13, -v101
	v_add_f16_e32 v75, v75, v99
	v_fma_f16 v76, v68, s16, -v76
	v_mul_f16_e32 v99, 0x3836, v69
	v_add_f16_e32 v104, v108, v104
	v_mul_f16_e32 v108, 0x3bb2, v69
	v_fma_f16 v101, v67, s13, v101
	v_add_f16_e32 v76, v76, v109
	v_add_f16_e32 v97, v97, v102
	v_fma_f16 v102, v68, s15, v99
	v_fma_f16 v109, v68, s13, v108
	v_add_f16_e32 v101, v101, v103
	v_fma_f16 v103, v68, s13, -v108
	v_mul_f16_e32 v108, 0x3b29, v70
	v_add_f16_e32 v102, v102, v110
	v_fma_f16 v110, v67, s10, -v108
	v_fma_f16 v99, v68, s15, -v99
	v_add_f16_e32 v106, v110, v106
	v_mul_f16_e32 v110, 0x3b29, v69
	v_fma_f16 v108, v67, s10, v108
	v_mul_f16_e32 v70, 0x35c8, v70
	v_add_f16_e32 v99, v99, v111
	v_fma_f16 v111, v68, s10, v110
	v_add_f16_e32 v105, v108, v105
	v_fma_f16 v108, v68, s10, -v110
	v_fma_f16 v110, v67, s11, -v70
	v_mul_f16_e32 v69, 0x35c8, v69
	v_fma_f16 v67, v67, s11, v70
	v_add_f16_e32 v57, v67, v57
	v_fma_f16 v67, v68, s11, -v69
	v_add_f16_e32 v45, v67, v45
	v_fma_f16 v67, v46, s10, v78
	v_add_f16_e32 v27, v67, v27
	v_fma_f16 v67, v30, s10, -v79
	v_add_f16_e32 v64, v67, v64
	;; [unrolled: 4-line block ×3, first 2 shown]
	v_mul_f16_e32 v67, 0x31e1, v59
	v_add_f16_e32 v107, v110, v107
	v_fma_f16 v110, v68, s11, v69
	v_fma_f16 v68, v46, s16, -v67
	v_mul_f16_e32 v69, 0x31e1, v58
	v_fma_f16 v67, v46, s16, v67
	v_add_f16_e32 v66, v67, v66
	v_fma_f16 v67, v30, s16, -v69
	v_fma_f16 v70, v30, s16, v69
	v_add_f16_e32 v67, v67, v72
	v_mul_f16_e32 v72, 0x3bb2, v58
	v_add_f16_e32 v70, v70, v73
	v_mul_f16_e32 v69, 0x3bb2, v59
	v_fma_f16 v73, v30, s13, v72
	v_fma_f16 v72, v30, s13, -v72
	v_add_f16_e32 v68, v68, v71
	v_fma_f16 v71, v46, s13, -v69
	v_fma_f16 v69, v46, s13, v69
	v_add_f16_e32 v72, v72, v76
	v_mul_f16_e32 v76, 0x3964, v58
	v_add_f16_e32 v73, v73, v77
	v_add_f16_e32 v69, v69, v74
	v_mul_f16_e32 v74, 0x3964, v59
	v_fma_f16 v77, v30, s9, v76
	v_fma_f16 v76, v30, s9, -v76
	v_mul_f16_e32 v78, 0xb5c8, v59
	v_mul_f16_e32 v80, 0xb5c8, v58
	v_add_f16_e32 v103, v103, v113
	v_add_f16_e32 v71, v71, v75
	v_fma_f16 v75, v46, s9, -v74
	v_fma_f16 v74, v46, s9, v74
	v_add_f16_e32 v76, v76, v99
	v_fma_f16 v79, v46, s11, -v78
	v_fma_f16 v81, v30, s11, v80
	v_fma_f16 v78, v46, s11, v78
	v_fma_f16 v80, v30, s11, -v80
	v_mul_f16_e32 v99, 0xbbf7, v58
	v_mul_f16_e32 v58, 0xb836, v58
	v_add_f16_e32 v74, v74, v95
	v_add_f16_e32 v78, v78, v101
	;; [unrolled: 1-line block ×3, first 2 shown]
	v_mul_f16_e32 v95, 0xbbf7, v59
	v_fma_f16 v101, v30, s8, v99
	v_fma_f16 v99, v30, s8, -v99
	v_mul_f16_e32 v59, 0xb836, v59
	v_fma_f16 v103, v30, s15, v58
	v_fma_f16 v30, v30, s15, -v58
	v_add_f16_e32 v75, v75, v97
	v_add_f16_e32 v77, v77, v102
	v_fma_f16 v97, v46, s8, -v95
	v_fma_f16 v95, v46, s8, v95
	v_fma_f16 v102, v46, s15, -v59
	v_fma_f16 v46, v46, s15, v59
	v_add_f16_e32 v30, v30, v45
	v_fma_f16 v45, v60, s8, v82
	v_add_f16_e32 v46, v46, v57
	v_add_f16_e32 v27, v45, v27
	v_fma_f16 v45, v61, s8, -v83
	v_fma_f16 v57, v60, s16, v84
	v_mul_f16_e32 v58, 0x3bb2, v63
	v_add_f16_e32 v45, v45, v64
	v_add_f16_e32 v56, v57, v56
	v_fma_f16 v57, v61, s16, -v85
	v_fma_f16 v59, v60, s13, -v58
	v_mul_f16_e32 v64, 0x3bb2, v62
	v_fma_f16 v58, v60, s13, v58
	v_add_f16_e32 v57, v57, v65
	v_fma_f16 v65, v61, s13, v64
	v_add_f16_e32 v58, v58, v66
	v_fma_f16 v64, v61, s13, -v64
	v_mul_f16_e32 v66, 0x35c8, v63
	v_add_f16_e32 v59, v59, v68
	v_add_f16_e32 v64, v64, v67
	v_fma_f16 v67, v60, s11, -v66
	v_mul_f16_e32 v68, 0x35c8, v62
	v_fma_f16 v66, v60, s11, v66
	v_add_f16_e32 v65, v65, v70
	v_fma_f16 v70, v61, s11, v68
	v_add_f16_e32 v66, v66, v69
	v_fma_f16 v68, v61, s11, -v68
	v_mul_f16_e32 v69, 0xbb29, v63
	v_add_f16_e32 v67, v67, v71
	v_add_f16_e32 v68, v68, v72
	;; [unrolled: 10-line block ×3, first 2 shown]
	v_fma_f16 v75, v60, s15, -v74
	v_mul_f16_e32 v76, 0xb836, v62
	v_fma_f16 v74, v60, s15, v74
	v_add_f16_e32 v79, v79, v104
	v_add_f16_e32 v73, v73, v77
	v_fma_f16 v77, v61, s15, v76
	v_add_f16_e32 v74, v74, v78
	v_fma_f16 v76, v61, s15, -v76
	v_mul_f16_e32 v78, 0x3a62, v63
	v_mul_f16_e32 v63, 0x3964, v63
	v_add_f16_e32 v75, v75, v79
	v_add_f16_e32 v76, v76, v80
	v_fma_f16 v79, v60, s14, -v78
	v_mul_f16_e32 v80, 0x3a62, v62
	v_fma_f16 v78, v60, s14, v78
	v_fma_f16 v82, v60, s9, -v63
	v_mul_f16_e32 v62, 0x3964, v62
	v_fma_f16 v60, v60, s9, v63
	v_add_f16_e32 v46, v60, v46
	v_fma_f16 v60, v61, s9, -v62
	v_add_f16_e32 v30, v60, v30
	v_fma_f16 v60, v48, s13, v86
	v_add_f16_e32 v27, v60, v27
	v_fma_f16 v60, v47, s13, -v87
	v_add_f16_e32 v45, v60, v45
	v_fma_f16 v60, v48, s15, v88
	v_add_f16_e32 v109, v109, v112
	v_add_f16_e32 v56, v60, v56
	v_fma_f16 v60, v47, s15, -v89
	v_add_f16_e32 v81, v81, v109
	v_add_f16_e32 v57, v60, v57
	v_mul_f16_e32 v60, 0x3964, v32
	v_add_f16_e32 v77, v77, v81
	v_fma_f16 v81, v61, s14, v80
	v_fma_f16 v80, v61, s14, -v80
	v_fma_f16 v83, v61, s9, v62
	v_fma_f16 v61, v48, s9, -v60
	v_add_f16_e32 v59, v61, v59
	v_mul_f16_e32 v61, 0x3964, v49
	v_fma_f16 v60, v48, s9, v60
	v_fma_f16 v62, v47, s9, v61
	v_add_f16_e32 v58, v60, v58
	v_fma_f16 v60, v47, s9, -v61
	v_mul_f16_e32 v61, 0xbb29, v32
	v_fma_f16 v63, v48, s10, -v61
	v_fma_f16 v61, v48, s10, v61
	v_add_f16_e32 v60, v60, v64
	v_mul_f16_e32 v64, 0xbb29, v49
	v_add_f16_e32 v61, v61, v66
	v_mul_f16_e32 v66, 0xb1e1, v32
	v_add_f16_e32 v62, v62, v65
	v_add_f16_e32 v63, v63, v67
	v_fma_f16 v65, v47, s10, v64
	v_fma_f16 v64, v47, s10, -v64
	v_fma_f16 v67, v48, s16, -v66
	v_fma_f16 v66, v48, s16, v66
	v_add_f16_e32 v64, v64, v68
	v_mul_f16_e32 v68, 0xb1e1, v49
	v_add_f16_e32 v66, v66, v69
	v_mul_f16_e32 v69, 0x3bf7, v32
	v_add_f16_e32 v65, v65, v70
	v_add_f16_e32 v67, v67, v71
	v_fma_f16 v70, v47, s16, v68
	v_fma_f16 v68, v47, s16, -v68
	v_fma_f16 v71, v48, s8, -v69
	v_fma_f16 v69, v48, s8, v69
	v_add_f16_e32 v95, v95, v105
	v_add_f16_e32 v68, v68, v72
	v_mul_f16_e32 v72, 0x3bf7, v49
	v_add_f16_e32 v69, v69, v74
	v_mul_f16_e32 v74, 0xb5c8, v32
	v_add_f16_e32 v78, v78, v95
	v_add_f16_e32 v70, v70, v73
	;; [unrolled: 1-line block ×3, first 2 shown]
	v_fma_f16 v73, v47, s8, v72
	v_fma_f16 v72, v47, s8, -v72
	v_fma_f16 v75, v48, s11, -v74
	v_fma_f16 v74, v48, s11, v74
	v_mul_f16_e32 v32, 0xba62, v32
	v_add_f16_e32 v72, v72, v76
	v_mul_f16_e32 v76, 0xb5c8, v49
	v_add_f16_e32 v74, v74, v78
	v_fma_f16 v78, v48, s14, -v32
	v_mul_f16_e32 v49, 0xba62, v49
	v_fma_f16 v32, v48, s14, v32
	v_add_f16_e32 v32, v32, v46
	v_fma_f16 v46, v47, s14, -v49
	v_add_f16_e32 v97, v97, v106
	v_add_f16_e32 v30, v46, v30
	v_fma_f16 v46, v50, s14, v90
	v_add_f16_e32 v79, v79, v97
	v_add_f16_e32 v27, v46, v27
	v_fma_f16 v46, v35, s14, -v91
	v_mul_f16_e32 v48, 0xb5c8, v33
	v_add_f16_e32 v75, v75, v79
	v_fma_f16 v79, v47, s14, v49
	v_add_f16_e32 v45, v46, v45
	v_fma_f16 v46, v50, s13, v92
	v_fma_f16 v49, v50, s11, -v48
	v_fma_f16 v48, v50, s11, v48
	v_add_f16_e32 v73, v73, v77
	v_fma_f16 v77, v47, s11, v76
	v_fma_f16 v76, v47, s11, -v76
	v_add_f16_e32 v46, v46, v56
	v_fma_f16 v47, v35, s13, -v93
	v_mul_f16_e32 v56, 0xb5c8, v51
	v_add_f16_e32 v48, v48, v58
	v_mul_f16_e32 v58, 0xb836, v33
	v_add_f16_e32 v47, v47, v57
	v_add_f16_e32 v49, v49, v59
	v_fma_f16 v57, v35, s11, v56
	v_fma_f16 v56, v35, s11, -v56
	v_fma_f16 v59, v50, s15, -v58
	v_fma_f16 v58, v50, s15, v58
	v_add_f16_e32 v56, v56, v60
	v_mul_f16_e32 v60, 0xb836, v51
	v_add_f16_e32 v58, v58, v61
	v_mul_f16_e32 v61, 0x3bf7, v33
	v_add_f16_e32 v57, v57, v62
	v_add_f16_e32 v59, v59, v63
	v_fma_f16 v62, v35, s15, v60
	v_fma_f16 v60, v35, s15, -v60
	v_fma_f16 v63, v50, s8, -v61
	v_fma_f16 v61, v50, s8, v61
	v_add_f16_e32 v60, v60, v64
	;; [unrolled: 10-line block ×3, first 2 shown]
	v_mul_f16_e32 v68, 0xb964, v51
	v_add_f16_e32 v66, v66, v69
	v_mul_f16_e32 v69, 0xb1e1, v33
	v_add_f16_e32 v65, v65, v70
	v_add_f16_e32 v67, v67, v71
	v_fma_f16 v70, v35, s9, v68
	v_fma_f16 v68, v35, s9, -v68
	v_fma_f16 v71, v50, s16, -v69
	v_fma_f16 v69, v50, s16, v69
	v_mul_f16_e32 v33, 0x3b29, v33
	v_add_f16_e32 v68, v68, v72
	v_mul_f16_e32 v72, 0xb1e1, v51
	v_add_f16_e32 v69, v69, v74
	v_fma_f16 v74, v50, s10, -v33
	v_mul_f16_e32 v51, 0x3b29, v51
	v_fma_f16 v33, v50, s10, v33
	v_add_f16_e32 v32, v33, v32
	v_fma_f16 v33, v35, s10, -v51
	v_add_f16_e32 v30, v33, v30
	v_fma_f16 v33, v52, s15, v94
	v_add_f16_e32 v70, v70, v73
	v_add_f16_e32 v71, v71, v75
	v_fma_f16 v73, v35, s16, v72
	v_fma_f16 v72, v35, s16, -v72
	v_fma_f16 v75, v35, s10, v51
	v_add_f16_e32 v27, v33, v27
	v_fma_f16 v33, v34, s15, -v96
	v_fma_f16 v35, v52, s10, v98
	v_add_f16_e32 v33, v33, v45
	v_add_f16_e32 v35, v35, v46
	v_fma_f16 v45, v34, s10, -v100
	v_mul_f16_e32 v46, 0xbbf7, v28
	v_add_f16_e32 v45, v45, v47
	v_fma_f16 v47, v52, s8, -v46
	v_add_f16_e32 v47, v47, v49
	v_mul_f16_e32 v49, 0xbbf7, v53
	v_fma_f16 v46, v52, s8, v46
	v_fma_f16 v50, v34, s8, v49
	v_add_f16_e32 v46, v46, v48
	v_fma_f16 v48, v34, s8, -v49
	v_mul_f16_e32 v49, 0x3a62, v28
	v_fma_f16 v51, v52, s14, -v49
	v_fma_f16 v49, v52, s14, v49
	v_add_f16_e32 v48, v48, v56
	v_mul_f16_e32 v56, 0x3a62, v53
	v_add_f16_e32 v49, v49, v58
	v_mul_f16_e32 v58, 0xb5c8, v28
	v_add_f16_e32 v50, v50, v57
	v_add_f16_e32 v51, v51, v59
	v_fma_f16 v57, v34, s14, v56
	v_fma_f16 v56, v34, s14, -v56
	v_fma_f16 v59, v52, s11, -v58
	v_fma_f16 v58, v52, s11, v58
	v_add_f16_e32 v56, v56, v60
	v_mul_f16_e32 v60, 0xb5c8, v53
	v_add_f16_e32 v58, v58, v61
	v_mul_f16_e32 v61, 0xb1e1, v28
	v_add_f16_e32 v57, v57, v62
	v_add_f16_e32 v59, v59, v63
	v_fma_f16 v62, v34, s11, v60
	v_fma_f16 v60, v34, s11, -v60
	v_fma_f16 v63, v52, s16, -v61
	v_fma_f16 v61, v52, s16, v61
	v_add_f16_e32 v60, v60, v64
	v_mul_f16_e32 v64, 0xb1e1, v53
	v_add_f16_e32 v61, v61, v66
	v_mul_f16_e32 v66, 0x3964, v28
	v_add_f16_e32 v62, v62, v65
	v_add_f16_e32 v63, v63, v67
	v_fma_f16 v65, v34, s16, v64
	v_fma_f16 v64, v34, s16, -v64
	v_fma_f16 v67, v52, s9, -v66
	v_fma_f16 v66, v52, s9, v66
	v_mul_f16_e32 v28, 0xbbb2, v28
	v_fma_f16 v23, v31, s16, -v23
	v_add_f16_e32 v64, v64, v68
	v_mul_f16_e32 v68, 0x3964, v53
	v_add_f16_e32 v66, v66, v69
	v_fma_f16 v69, v52, s13, -v28
	v_mul_f16_e32 v53, 0xbbb2, v53
	v_fma_f16 v28, v52, s13, v28
	v_fma_f16 v22, v54, s16, v22
	v_add_f16_e32 v23, v23, v33
	v_fma_f16 v24, v54, s11, v24
	v_mul_f16_e32 v33, 0xb836, v55
	v_add_f16_e32 v65, v65, v70
	v_add_f16_e32 v67, v67, v71
	v_fma_f16 v70, v34, s9, v68
	v_fma_f16 v68, v34, s9, -v68
	v_fma_f16 v71, v34, s13, v53
	v_add_f16_e32 v28, v28, v32
	v_fma_f16 v32, v34, s13, -v53
	v_add_f16_e32 v22, v22, v27
	v_add_f16_e32 v24, v24, v35
	v_fma_f16 v25, v31, s11, -v25
	v_mul_f16_e32 v27, 0xb836, v29
	v_fma_f16 v34, v31, s15, v33
	v_fma_f16 v33, v31, s15, -v33
	v_mul_f16_e32 v35, 0x3964, v29
	v_add_f16_e32 v111, v111, v114
	v_add_f16_e32 v110, v110, v116
	;; [unrolled: 1-line block ×4, first 2 shown]
	v_fma_f16 v32, v54, s15, -v27
	v_fma_f16 v27, v54, s15, v27
	v_add_f16_e32 v33, v33, v48
	v_fma_f16 v45, v54, s9, -v35
	v_fma_f16 v35, v54, s9, v35
	v_mul_f16_e32 v48, 0xba62, v29
	v_add_f16_e32 v108, v108, v115
	v_add_f16_e32 v101, v101, v111
	;; [unrolled: 1-line block ×6, first 2 shown]
	v_mul_f16_e32 v46, 0x3964, v55
	v_add_f16_e32 v35, v35, v49
	v_fma_f16 v49, v54, s14, -v48
	v_mul_f16_e32 v50, 0xba62, v55
	v_fma_f16 v48, v54, s14, v48
	v_add_f16_e32 v99, v99, v108
	v_add_f16_e32 v81, v81, v101
	;; [unrolled: 1-line block ×6, first 2 shown]
	v_fma_f16 v47, v31, s9, v46
	v_fma_f16 v46, v31, s9, -v46
	v_fma_f16 v51, v31, s14, v50
	v_add_f16_e32 v48, v48, v58
	v_fma_f16 v50, v31, s14, -v50
	v_mul_f16_e32 v52, 0x3b29, v29
	v_mul_f16_e32 v58, 0xbbb2, v29
	;; [unrolled: 1-line block ×3, first 2 shown]
	v_add_f16_e32 v80, v80, v99
	v_add_f16_e32 v77, v77, v81
	;; [unrolled: 1-line block ×7, first 2 shown]
	v_mul_f16_e32 v56, 0x3b29, v55
	v_mul_f16_e32 v60, 0xbbb2, v55
	v_fma_f16 v62, v54, s8, -v29
	v_mul_f16_e32 v55, 0x3bf7, v55
	v_fma_f16 v29, v54, s8, v29
	v_add_f16_e32 v76, v76, v80
	v_add_f16_e32 v73, v73, v77
	;; [unrolled: 1-line block ×5, first 2 shown]
	v_fma_f16 v53, v54, s10, -v52
	v_fma_f16 v57, v31, s10, v56
	v_fma_f16 v52, v54, s10, v52
	v_add_f16_e32 v28, v29, v28
	v_fma_f16 v29, v31, s8, -v55
	v_add_f16_e32 v72, v72, v76
	v_add_f16_e32 v70, v70, v73
	v_add_f16_e32 v69, v69, v74
	v_add_f16_e32 v71, v71, v75
	v_add_f16_e32 v49, v49, v59
	v_add_f16_e32 v53, v53, v63
	v_add_f16_e32 v57, v57, v65
	v_add_f16_e32 v52, v52, v61
	v_fma_f16 v59, v54, s13, -v58
	v_fma_f16 v61, v31, s13, v60
	v_fma_f16 v63, v31, s8, v55
	v_add_f16_e32 v29, v29, v30
	ds_write_b32 v36, v26
	v_pack_b32_f16 v26, v45, v47
	v_pack_b32_f16 v30, v32, v34
	v_add_f16_e32 v68, v68, v72
	v_add_f16_e32 v59, v59, v67
	;; [unrolled: 1-line block ×3, first 2 shown]
	v_fma_f16 v58, v54, s13, v58
	v_fma_f16 v60, v31, s13, -v60
	v_add_f16_e32 v62, v62, v69
	v_add_f16_e32 v63, v63, v71
	ds_write2_b32 v36, v30, v26 offset0:3 offset1:4
	v_pack_b32_f16 v26, v53, v57
	v_pack_b32_f16 v30, v49, v51
	v_fma_f16 v56, v31, s10, -v56
	v_add_f16_e32 v58, v58, v66
	v_add_f16_e32 v60, v60, v68
	ds_write2_b32 v36, v30, v26 offset0:5 offset1:6
	v_pack_b32_f16 v26, v62, v63
	v_pack_b32_f16 v30, v59, v61
	v_add_f16_e32 v56, v56, v64
	ds_write2_b32 v36, v30, v26 offset0:7 offset1:8
	v_pack_b32_f16 v26, v58, v60
	v_pack_b32_f16 v28, v28, v29
	ds_write2_b32 v36, v28, v26 offset0:9 offset1:10
	v_pack_b32_f16 v26, v48, v50
	v_pack_b32_f16 v28, v52, v56
	;; [unrolled: 3-line block ×3, first 2 shown]
	v_pack_b32_f16 v22, v22, v23
	v_pack_b32_f16 v23, v24, v25
	ds_write2_b32 v36, v27, v26 offset0:13 offset1:14
	ds_write2_b32 v36, v23, v22 offset0:15 offset1:16
	s_waitcnt lgkmcnt(0)
	s_barrier
	global_load_dwordx4 v[22:25], v21, s[2:3] offset:80
	global_load_dwordx4 v[26:29], v21, s[2:3] offset:96
	ds_read2_b32 v[34:35], v36 offset1:1
	global_load_dwordx4 v[30:33], v21, s[2:3] offset:112
	ds_read2_b32 v[46:47], v36 offset0:2 offset1:3
	ds_read2_b32 v[48:49], v36 offset0:4 offset1:5
	;; [unrolled: 1-line block ×3, first 2 shown]
	s_waitcnt lgkmcnt(3)
	v_lshrrev_b32_e32 v45, 16, v34
	v_mul_f16_sdwa v53, v45, v1 dst_sel:DWORD dst_unused:UNUSED_PAD src0_sel:DWORD src1_sel:WORD_1
	v_lshrrev_b32_e32 v52, 16, v35
	v_fma_f16 v53, v34, v1, -v53
	v_mul_f16_sdwa v34, v34, v1 dst_sel:DWORD dst_unused:UNUSED_PAD src0_sel:DWORD src1_sel:WORD_1
	v_fma_f16 v1, v45, v1, v34
	v_mul_f16_sdwa v34, v52, v2 dst_sel:DWORD dst_unused:UNUSED_PAD src0_sel:DWORD src1_sel:WORD_1
	v_fma_f16 v34, v35, v2, -v34
	v_mul_f16_sdwa v35, v35, v2 dst_sel:DWORD dst_unused:UNUSED_PAD src0_sel:DWORD src1_sel:WORD_1
	v_fma_f16 v2, v52, v2, v35
	v_pack_b32_f16 v2, v34, v2
	v_pack_b32_f16 v1, v53, v1
	ds_write2_b32 v36, v1, v2 offset1:1
	s_waitcnt lgkmcnt(3)
	v_lshrrev_b32_e32 v1, 16, v46
	v_mul_f16_sdwa v2, v1, v3 dst_sel:DWORD dst_unused:UNUSED_PAD src0_sel:DWORD src1_sel:WORD_1
	v_lshrrev_b32_e32 v34, 16, v47
	v_fma_f16 v35, v46, v3, -v2
	v_mul_f16_sdwa v2, v46, v3 dst_sel:DWORD dst_unused:UNUSED_PAD src0_sel:DWORD src1_sel:WORD_1
	v_fma_f16 v1, v1, v3, v2
	v_pack_b32_f16 v1, v35, v1
	s_waitcnt vmcnt(2)
	v_mul_f16_sdwa v2, v34, v22 dst_sel:DWORD dst_unused:UNUSED_PAD src0_sel:DWORD src1_sel:WORD_1
	v_fma_f16 v45, v47, v22, -v2
	global_load_dwordx2 v[2:3], v21, s[2:3] offset:128
	v_mul_f16_sdwa v46, v47, v22 dst_sel:DWORD dst_unused:UNUSED_PAD src0_sel:DWORD src1_sel:WORD_1
	v_fma_f16 v21, v34, v22, v46
	v_pack_b32_f16 v21, v45, v21
	ds_write2_b32 v36, v1, v21 offset0:2 offset1:3
	s_waitcnt lgkmcnt(3)
	v_lshrrev_b32_e32 v1, 16, v48
	v_lshrrev_b32_e32 v21, 16, v49
	v_mul_f16_sdwa v22, v1, v23 dst_sel:DWORD dst_unused:UNUSED_PAD src0_sel:DWORD src1_sel:WORD_1
	v_mul_f16_sdwa v34, v48, v23 dst_sel:DWORD dst_unused:UNUSED_PAD src0_sel:DWORD src1_sel:WORD_1
	v_fma_f16 v22, v48, v23, -v22
	v_fma_f16 v1, v1, v23, v34
	v_mul_f16_sdwa v23, v21, v24 dst_sel:DWORD dst_unused:UNUSED_PAD src0_sel:DWORD src1_sel:WORD_1
	v_mul_f16_sdwa v34, v49, v24 dst_sel:DWORD dst_unused:UNUSED_PAD src0_sel:DWORD src1_sel:WORD_1
	v_fma_f16 v23, v49, v24, -v23
	v_fma_f16 v21, v21, v24, v34
	v_pack_b32_f16 v21, v23, v21
	v_pack_b32_f16 v1, v22, v1
	ds_write2_b32 v36, v1, v21 offset0:4 offset1:5
	s_waitcnt lgkmcnt(3)
	v_lshrrev_b32_e32 v1, 16, v50
	v_lshrrev_b32_e32 v21, 16, v51
	v_mul_f16_sdwa v23, v50, v25 dst_sel:DWORD dst_unused:UNUSED_PAD src0_sel:DWORD src1_sel:WORD_1
	v_mul_f16_sdwa v22, v1, v25 dst_sel:DWORD dst_unused:UNUSED_PAD src0_sel:DWORD src1_sel:WORD_1
	v_fma_f16 v1, v1, v25, v23
	s_waitcnt vmcnt(2)
	v_mul_f16_sdwa v23, v21, v26 dst_sel:DWORD dst_unused:UNUSED_PAD src0_sel:DWORD src1_sel:WORD_1
	v_mul_f16_sdwa v24, v51, v26 dst_sel:DWORD dst_unused:UNUSED_PAD src0_sel:DWORD src1_sel:WORD_1
	v_fma_f16 v22, v50, v25, -v22
	v_fma_f16 v23, v51, v26, -v23
	v_fma_f16 v21, v21, v26, v24
	v_pack_b32_f16 v21, v23, v21
	v_pack_b32_f16 v1, v22, v1
	ds_read2_b32 v[22:23], v36 offset0:8 offset1:9
	ds_write2_b32 v36, v1, v21 offset0:6 offset1:7
	ds_read2_b32 v[24:25], v36 offset0:10 offset1:11
	ds_read2_b32 v[34:35], v36 offset0:12 offset1:13
	;; [unrolled: 1-line block ×3, first 2 shown]
	s_mov_b32 s2, 0xb1e1
	s_movk_i32 s3, 0x31e1
	s_waitcnt lgkmcnt(4)
	v_lshrrev_b32_e32 v1, 16, v22
	v_mul_f16_sdwa v26, v1, v27 dst_sel:DWORD dst_unused:UNUSED_PAD src0_sel:DWORD src1_sel:WORD_1
	v_lshrrev_b32_e32 v21, 16, v23
	v_fma_f16 v26, v22, v27, -v26
	v_mul_f16_sdwa v22, v22, v27 dst_sel:DWORD dst_unused:UNUSED_PAD src0_sel:DWORD src1_sel:WORD_1
	v_fma_f16 v1, v1, v27, v22
	v_mul_f16_sdwa v22, v21, v28 dst_sel:DWORD dst_unused:UNUSED_PAD src0_sel:DWORD src1_sel:WORD_1
	v_fma_f16 v22, v23, v28, -v22
	v_mul_f16_sdwa v23, v23, v28 dst_sel:DWORD dst_unused:UNUSED_PAD src0_sel:DWORD src1_sel:WORD_1
	v_fma_f16 v21, v21, v28, v23
	v_pack_b32_f16 v21, v22, v21
	v_pack_b32_f16 v1, v26, v1
	ds_write2_b32 v36, v1, v21 offset0:8 offset1:9
	s_waitcnt lgkmcnt(3)
	v_lshrrev_b32_e32 v1, 16, v24
	v_lshrrev_b32_e32 v21, 16, v25
	v_mul_f16_sdwa v22, v1, v29 dst_sel:DWORD dst_unused:UNUSED_PAD src0_sel:DWORD src1_sel:WORD_1
	v_mul_f16_sdwa v23, v24, v29 dst_sel:DWORD dst_unused:UNUSED_PAD src0_sel:DWORD src1_sel:WORD_1
	v_fma_f16 v22, v24, v29, -v22
	v_fma_f16 v1, v1, v29, v23
	s_waitcnt vmcnt(1)
	v_mul_f16_sdwa v23, v21, v30 dst_sel:DWORD dst_unused:UNUSED_PAD src0_sel:DWORD src1_sel:WORD_1
	v_mul_f16_sdwa v24, v25, v30 dst_sel:DWORD dst_unused:UNUSED_PAD src0_sel:DWORD src1_sel:WORD_1
	v_fma_f16 v23, v25, v30, -v23
	v_fma_f16 v21, v21, v30, v24
	v_pack_b32_f16 v21, v23, v21
	v_pack_b32_f16 v1, v22, v1
	ds_write2_b32 v36, v1, v21 offset0:10 offset1:11
	s_waitcnt lgkmcnt(3)
	v_lshrrev_b32_e32 v1, 16, v34
	v_lshrrev_b32_e32 v21, 16, v35
	v_mul_f16_sdwa v23, v34, v31 dst_sel:DWORD dst_unused:UNUSED_PAD src0_sel:DWORD src1_sel:WORD_1
	v_mul_f16_sdwa v22, v1, v31 dst_sel:DWORD dst_unused:UNUSED_PAD src0_sel:DWORD src1_sel:WORD_1
	v_fma_f16 v1, v1, v31, v23
	v_mul_f16_sdwa v23, v21, v32 dst_sel:DWORD dst_unused:UNUSED_PAD src0_sel:DWORD src1_sel:WORD_1
	v_mul_f16_sdwa v24, v35, v32 dst_sel:DWORD dst_unused:UNUSED_PAD src0_sel:DWORD src1_sel:WORD_1
	v_fma_f16 v22, v34, v31, -v22
	v_fma_f16 v23, v35, v32, -v23
	v_fma_f16 v21, v21, v32, v24
	v_pack_b32_f16 v21, v23, v21
	v_pack_b32_f16 v1, v22, v1
	ds_read_b32 v25, v36 offset:64
	ds_write2_b32 v36, v1, v21 offset0:12 offset1:13
	s_waitcnt lgkmcnt(4)
	v_lshrrev_b32_e32 v1, 16, v46
	v_lshrrev_b32_e32 v21, 16, v47
	v_mul_f16_sdwa v23, v46, v33 dst_sel:DWORD dst_unused:UNUSED_PAD src0_sel:DWORD src1_sel:WORD_1
	v_mul_f16_sdwa v22, v1, v33 dst_sel:DWORD dst_unused:UNUSED_PAD src0_sel:DWORD src1_sel:WORD_1
	v_fma_f16 v1, v1, v33, v23
	s_waitcnt vmcnt(0)
	v_mul_f16_sdwa v23, v21, v2 dst_sel:DWORD dst_unused:UNUSED_PAD src0_sel:DWORD src1_sel:WORD_1
	v_mul_f16_sdwa v24, v47, v2 dst_sel:DWORD dst_unused:UNUSED_PAD src0_sel:DWORD src1_sel:WORD_1
	v_fma_f16 v22, v46, v33, -v22
	v_fma_f16 v23, v47, v2, -v23
	v_fma_f16 v2, v21, v2, v24
	v_pack_b32_f16 v2, v23, v2
	v_pack_b32_f16 v1, v22, v1
	ds_write2_b32 v36, v1, v2 offset0:14 offset1:15
	s_waitcnt lgkmcnt(2)
	v_lshrrev_b32_e32 v1, 16, v25
	v_mul_f16_sdwa v2, v1, v3 dst_sel:DWORD dst_unused:UNUSED_PAD src0_sel:DWORD src1_sel:WORD_1
	v_mul_f16_sdwa v21, v25, v3 dst_sel:DWORD dst_unused:UNUSED_PAD src0_sel:DWORD src1_sel:WORD_1
	v_fma_f16 v2, v25, v3, -v2
	v_fma_f16 v1, v1, v3, v21
	v_pack_b32_f16 v1, v2, v1
	ds_write_b32 v36, v1 offset:64
	s_waitcnt lgkmcnt(0)
	s_barrier
	ds_read2_b32 v[32:33], v36 offset0:1 offset1:2
	ds_read_b32 v1, v36 offset:64
	ds_read2_b32 v[28:29], v36 offset0:3 offset1:4
	ds_read2_b32 v[22:23], v36 offset0:5 offset1:6
	ds_read2_b32 v[2:3], v36 offset0:8 offset1:9
	s_waitcnt lgkmcnt(4)
	v_alignbit_b32 v21, v32, v32, 16
	s_waitcnt lgkmcnt(3)
	v_pk_add_f16 v26, v1, v21 op_sel:[1,0] op_sel_hi:[0,1]
	v_pk_add_f16 v21, v21, v1 op_sel:[0,1] op_sel_hi:[1,0] neg_lo:[0,1] neg_hi:[0,1]
	v_lshrrev_b32_e32 v24, 16, v26
	v_mul_f16_e32 v25, 0xb5c8, v21
	v_fma_f16 v45, v24, s11, v25
	v_fma_f16 v47, v24, s11, -v25
	v_mul_f16_e32 v25, 0xb964, v21
	v_fma_f16 v49, v24, s9, v25
	v_fma_f16 v50, v24, s9, -v25
	;; [unrolled: 3-line block ×6, first 2 shown]
	v_mul_f16_e32 v25, 0xb836, v21
	v_lshrrev_b32_e32 v30, 16, v21
	v_fma_f16 v59, v24, s15, v25
	v_fma_f16 v60, v24, s15, -v25
	v_mul_f16_e32 v24, 0x39e9, v26
	v_fma_f16 v61, v30, s25, v24
	v_fma_f16 v62, v30, s23, v24
	v_mul_f16_e32 v24, 0x3722, v26
	v_fma_f16 v63, v30, s21, v24
	v_fma_f16 v64, v30, s20, v24
	v_mul_f16_e32 v24, 0x2de8, v26
	v_fma_f16 v65, v30, s18, v24
	v_fma_f16 v66, v30, s30, v24
	v_mul_f16_e32 v24, 0xb461, v26
	v_fma_f16 v67, v30, s19, v24
	v_fma_f16 v68, v30, s17, v24
	v_mul_f16_e32 v24, 0xb8d2, v26
	v_fma_f16 v69, v30, s24, v24
	v_fma_f16 v70, v30, s22, v24
	v_mul_f16_e32 v24, 0xbacd, v26
	v_fma_f16 v71, v30, s27, v24
	v_fma_f16 v72, v30, s26, v24
	ds_read2_b32 v[24:25], v36 offset1:7
	ds_read2_b32 v[34:35], v36 offset0:14 offset1:15
	v_pk_mul_f16 v21, v21, s2 op_sel_hi:[1,0]
	v_mul_f16_e32 v27, 0x3b76, v26
	v_pk_fma_f16 v73, v26, s16, v21 op_sel:[0,0,1] op_sel_hi:[1,0,0]
	v_pk_fma_f16 v74, v26, s16, v21 op_sel:[0,0,1] op_sel_hi:[1,0,0] neg_lo:[0,0,1] neg_hi:[0,0,1]
	s_waitcnt lgkmcnt(1)
	v_add_f16_e32 v21, v32, v24
	v_add_f16_e32 v75, v21, v33
	v_add_f16_sdwa v21, v32, v24 dst_sel:DWORD dst_unused:UNUSED_PAD src0_sel:WORD_1 src1_sel:WORD_1
	v_add_f16_sdwa v76, v21, v33 dst_sel:DWORD dst_unused:UNUSED_PAD src0_sel:DWORD src1_sel:WORD_1
	s_waitcnt lgkmcnt(0)
	v_pk_add_f16 v32, v35, v33
	v_pk_add_f16 v21, v33, v35 neg_lo:[0,1] neg_hi:[0,1]
	v_add_f16_e32 v33, v75, v28
	v_add_f16_sdwa v75, v76, v28 dst_sel:DWORD dst_unused:UNUSED_PAD src0_sel:DWORD src1_sel:WORD_1
	v_add_f16_e32 v33, v33, v29
	v_add_f16_sdwa v75, v75, v29 dst_sel:DWORD dst_unused:UNUSED_PAD src0_sel:DWORD src1_sel:WORD_1
	;; [unrolled: 2-line block ×3, first 2 shown]
	v_fma_f16 v46, v30, s29, v27
	v_fma_f16 v48, v30, s28, v27
	ds_read2_b32 v[26:27], v36 offset0:10 offset1:11
	ds_read2_b32 v[30:31], v36 offset0:12 offset1:13
	v_add_f16_e32 v33, v33, v23
	v_add_f16_sdwa v75, v75, v23 dst_sel:DWORD dst_unused:UNUSED_PAD src0_sel:DWORD src1_sel:WORD_1
	v_add_f16_e32 v33, v33, v25
	v_add_f16_sdwa v75, v75, v25 dst_sel:DWORD dst_unused:UNUSED_PAD src0_sel:DWORD src1_sel:WORD_1
	;; [unrolled: 2-line block ×4, first 2 shown]
	s_waitcnt lgkmcnt(1)
	v_add_f16_e32 v33, v33, v26
	v_add_f16_sdwa v75, v75, v26 dst_sel:DWORD dst_unused:UNUSED_PAD src0_sel:DWORD src1_sel:WORD_1
	v_add_f16_e32 v33, v33, v27
	v_add_f16_sdwa v75, v75, v27 dst_sel:DWORD dst_unused:UNUSED_PAD src0_sel:DWORD src1_sel:WORD_1
	s_waitcnt lgkmcnt(0)
	v_add_f16_e32 v33, v33, v30
	v_add_f16_sdwa v75, v75, v30 dst_sel:DWORD dst_unused:UNUSED_PAD src0_sel:DWORD src1_sel:WORD_1
	v_add_f16_e32 v33, v33, v31
	v_add_f16_sdwa v75, v75, v31 dst_sel:DWORD dst_unused:UNUSED_PAD src0_sel:DWORD src1_sel:WORD_1
	v_add_f16_e32 v33, v33, v34
	v_add_f16_sdwa v75, v75, v34 dst_sel:DWORD dst_unused:UNUSED_PAD src0_sel:DWORD src1_sel:WORD_1
	v_add_f16_e32 v33, v33, v35
	v_add_f16_sdwa v35, v75, v35 dst_sel:DWORD dst_unused:UNUSED_PAD src0_sel:DWORD src1_sel:WORD_1
	v_add_f16_e32 v33, v33, v1
	v_add_f16_sdwa v1, v35, v1 dst_sel:WORD_1 dst_unused:UNUSED_PAD src0_sel:DWORD src1_sel:WORD_1
	v_pk_add_f16 v75, v34, v28
	v_or_b32_e32 v1, v1, v33
	v_mul_f16_sdwa v33, v21, s23 dst_sel:DWORD dst_unused:UNUSED_PAD src0_sel:WORD_1 src1_sel:DWORD
	v_pk_add_f16 v28, v28, v34 neg_lo:[0,1] neg_hi:[0,1]
	v_pk_add_f16 v34, v31, v29
	v_pk_add_f16 v29, v29, v31 neg_lo:[0,1] neg_hi:[0,1]
	v_pk_add_f16 v31, v30, v22
	;; [unrolled: 2-line block ×4, first 2 shown]
	v_pk_add_f16 v25, v25, v26 neg_lo:[0,1] neg_hi:[0,1]
	v_add_f16_e32 v26, v45, v24
	v_fma_f16 v35, v32, s9, v33
	v_add_f16_sdwa v45, v46, v24 dst_sel:DWORD dst_unused:UNUSED_PAD src0_sel:DWORD src1_sel:WORD_1
	v_add_f16_e32 v46, v47, v24
	v_add_f16_e32 v26, v35, v26
	v_mul_f16_sdwa v35, v32, s9 dst_sel:DWORD dst_unused:UNUSED_PAD src0_sel:WORD_1 src1_sel:DWORD
	v_fma_f16 v33, v32, s9, -v33
	v_add_f16_sdwa v47, v48, v24 dst_sel:DWORD dst_unused:UNUSED_PAD src0_sel:DWORD src1_sel:WORD_1
	v_add_f16_e32 v48, v49, v24
	v_add_f16_sdwa v49, v61, v24 dst_sel:DWORD dst_unused:UNUSED_PAD src0_sel:DWORD src1_sel:WORD_1
	v_add_f16_sdwa v61, v62, v24 dst_sel:DWORD dst_unused:UNUSED_PAD src0_sel:DWORD src1_sel:WORD_1
	;; [unrolled: 1-line block ×12, first 2 shown]
	v_pk_add_f16 v72, v73, v24 op_sel:[0,1] op_sel_hi:[1,0]
	v_fma_f16 v73, v21, s25, v35
	v_add_f16_e32 v33, v33, v46
	v_fma_f16 v35, v21, s23, v35
	v_mul_f16_sdwa v46, v21, s30 dst_sel:DWORD dst_unused:UNUSED_PAD src0_sel:WORD_1 src1_sel:DWORD
	v_add_f16_e32 v35, v35, v47
	v_fma_f16 v47, v32, s8, v46
	v_add_f16_e32 v50, v50, v24
	v_add_f16_e32 v47, v47, v48
	v_mul_f16_sdwa v48, v32, s8 dst_sel:DWORD dst_unused:UNUSED_PAD src0_sel:WORD_1 src1_sel:DWORD
	v_fma_f16 v46, v32, s8, -v46
	v_add_f16_e32 v45, v73, v45
	v_fma_f16 v73, v21, s18, v48
	v_add_f16_e32 v46, v46, v50
	v_fma_f16 v48, v21, s30, v48
	v_mul_f16_sdwa v50, v21, s22 dst_sel:DWORD dst_unused:UNUSED_PAD src0_sel:WORD_1 src1_sel:DWORD
	v_add_f16_e32 v51, v51, v24
	v_add_f16_e32 v48, v48, v61
	v_fma_f16 v61, v32, s14, v50
	v_add_f16_e32 v52, v52, v24
	v_add_f16_e32 v51, v61, v51
	v_mul_f16_sdwa v61, v32, s14 dst_sel:DWORD dst_unused:UNUSED_PAD src0_sel:WORD_1 src1_sel:DWORD
	v_fma_f16 v50, v32, s14, -v50
	v_add_f16_e32 v49, v73, v49
	v_fma_f16 v73, v21, s24, v61
	v_add_f16_e32 v50, v50, v52
	v_fma_f16 v52, v21, s22, v61
	v_mul_f16_sdwa v61, v21, s2 dst_sel:DWORD dst_unused:UNUSED_PAD src0_sel:WORD_1 src1_sel:DWORD
	v_add_f16_e32 v53, v53, v24
	;; [unrolled: 12-line block ×5, first 2 shown]
	v_add_f16_e32 v65, v65, v69
	v_fma_f16 v69, v32, s10, v67
	v_add_f16_e32 v60, v60, v24
	v_add_f16_e32 v59, v69, v59
	v_mul_f16_sdwa v69, v32, s10 dst_sel:DWORD dst_unused:UNUSED_PAD src0_sel:WORD_1 src1_sel:DWORD
	v_fma_f16 v67, v32, s10, -v67
	v_pk_mul_f16 v32, v32, s11 op_sel_hi:[1,0]
	v_pk_add_f16 v24, v74, v24 op_sel:[0,1] op_sel_hi:[1,0]
	v_add_f16_e32 v68, v73, v68
	v_fma_f16 v73, v21, s20, v69
	v_add_f16_e32 v60, v67, v60
	v_fma_f16 v67, v21, s21, v69
	v_pk_fma_f16 v69, v21, s29, v32 op_sel:[0,0,1] op_sel_hi:[1,0,0]
	v_pk_fma_f16 v21, v21, s29, v32 op_sel:[0,0,1] op_sel_hi:[1,0,0] neg_lo:[1,0,0] neg_hi:[1,0,0]
	v_add_f16_e32 v67, v67, v71
	v_pk_add_f16 v21, v21, v24
	v_mul_f16_sdwa v24, v28, s20 dst_sel:DWORD dst_unused:UNUSED_PAD src0_sel:WORD_1 src1_sel:DWORD
	v_fma_f16 v32, v75, s10, v24
	v_add_f16_e32 v26, v32, v26
	v_mul_f16_sdwa v32, v75, s10 dst_sel:DWORD dst_unused:UNUSED_PAD src0_sel:WORD_1 src1_sel:DWORD
	v_fma_f16 v24, v75, s10, -v24
	v_fma_f16 v71, v28, s21, v32
	v_add_f16_e32 v24, v24, v33
	v_fma_f16 v32, v28, s20, v32
	v_mul_f16_sdwa v33, v28, s22 dst_sel:DWORD dst_unused:UNUSED_PAD src0_sel:WORD_1 src1_sel:DWORD
	v_add_f16_e32 v32, v32, v35
	v_fma_f16 v35, v75, s14, v33
	v_add_f16_e32 v35, v35, v47
	v_mul_f16_sdwa v47, v75, s14 dst_sel:DWORD dst_unused:UNUSED_PAD src0_sel:WORD_1 src1_sel:DWORD
	v_fma_f16 v33, v75, s14, -v33
	v_add_f16_e32 v45, v71, v45
	v_fma_f16 v71, v28, s24, v47
	v_add_f16_e32 v33, v33, v46
	v_fma_f16 v46, v28, s22, v47
	v_mul_f16_sdwa v47, v28, s3 dst_sel:DWORD dst_unused:UNUSED_PAD src0_sel:WORD_1 src1_sel:DWORD
	v_add_f16_e32 v46, v46, v48
	v_fma_f16 v48, v75, s16, v47
	v_add_f16_e32 v48, v48, v51
	v_mul_f16_sdwa v51, v75, s16 dst_sel:DWORD dst_unused:UNUSED_PAD src0_sel:WORD_1 src1_sel:DWORD
	v_fma_f16 v47, v75, s16, -v47
	v_add_f16_e32 v49, v71, v49
	;; [unrolled: 10-line block ×6, first 2 shown]
	v_fma_f16 v71, v28, s18, v65
	v_add_f16_e32 v60, v63, v60
	v_fma_f16 v63, v28, s30, v65
	v_pk_mul_f16 v65, v75, s15 op_sel_hi:[1,0]
	v_add_f16_e32 v63, v63, v67
	v_pk_fma_f16 v67, v28, s26, v65 op_sel:[0,0,1] op_sel_hi:[1,0,0]
	v_pk_fma_f16 v28, v28, s26, v65 op_sel:[0,0,1] op_sel_hi:[1,0,0] neg_lo:[1,0,0] neg_hi:[1,0,0]
	v_pk_add_f16 v69, v69, v72
	v_pk_add_f16 v21, v28, v21
	v_mul_f16_sdwa v28, v29, s30 dst_sel:DWORD dst_unused:UNUSED_PAD src0_sel:WORD_1 src1_sel:DWORD
	v_fma_f16 v65, v34, s8, v28
	v_add_f16_e32 v26, v65, v26
	v_mul_f16_sdwa v65, v34, s8 dst_sel:DWORD dst_unused:UNUSED_PAD src0_sel:WORD_1 src1_sel:DWORD
	v_fma_f16 v28, v34, s8, -v28
	v_add_f16_e32 v24, v28, v24
	v_fma_f16 v28, v29, s30, v65
	v_add_f16_e32 v28, v28, v32
	v_mul_f16_sdwa v32, v29, s2 dst_sel:DWORD dst_unused:UNUSED_PAD src0_sel:WORD_1 src1_sel:DWORD
	v_pk_add_f16 v67, v67, v69
	v_fma_f16 v69, v29, s18, v65
	v_fma_f16 v65, v34, s16, v32
	v_add_f16_e32 v35, v65, v35
	v_mul_f16_sdwa v65, v34, s16 dst_sel:DWORD dst_unused:UNUSED_PAD src0_sel:WORD_1 src1_sel:DWORD
	v_fma_f16 v32, v34, s16, -v32
	v_add_f16_e32 v32, v32, v33
	v_fma_f16 v33, v29, s2, v65
	v_add_f16_e32 v33, v33, v46
	v_mul_f16_sdwa v46, v29, s19 dst_sel:DWORD dst_unused:UNUSED_PAD src0_sel:WORD_1 src1_sel:DWORD
	v_add_f16_e32 v45, v69, v45
	v_fma_f16 v69, v29, s3, v65
	v_fma_f16 v65, v34, s13, v46
	v_add_f16_e32 v48, v65, v48
	v_mul_f16_sdwa v65, v34, s13 dst_sel:DWORD dst_unused:UNUSED_PAD src0_sel:WORD_1 src1_sel:DWORD
	v_fma_f16 v46, v34, s13, -v46
	v_add_f16_e32 v46, v46, v47
	v_fma_f16 v47, v29, s19, v65
	v_add_f16_e32 v47, v47, v50
	v_mul_f16_sdwa v50, v29, s29 dst_sel:DWORD dst_unused:UNUSED_PAD src0_sel:WORD_1 src1_sel:DWORD
	v_add_f16_e32 v49, v69, v49
	;; [unrolled: 10-line block ×5, first 2 shown]
	v_fma_f16 v69, v29, s27, v65
	v_fma_f16 v65, v34, s14, v61
	v_add_f16_e32 v59, v65, v59
	v_mul_f16_sdwa v65, v34, s14 dst_sel:DWORD dst_unused:UNUSED_PAD src0_sel:WORD_1 src1_sel:DWORD
	v_fma_f16 v61, v34, s14, -v61
	v_add_f16_e32 v60, v61, v60
	v_fma_f16 v61, v29, s24, v65
	v_pk_mul_f16 v34, v34, s9 op_sel_hi:[1,0]
	v_add_f16_e32 v68, v69, v68
	v_fma_f16 v69, v29, s22, v65
	v_add_f16_e32 v61, v61, v63
	v_pk_fma_f16 v63, v29, s25, v34 op_sel:[0,0,1] op_sel_hi:[1,0,0]
	v_pk_fma_f16 v29, v29, s25, v34 op_sel:[0,0,1] op_sel_hi:[1,0,0] neg_lo:[1,0,0] neg_hi:[1,0,0]
	v_pk_add_f16 v63, v63, v67
	v_pk_add_f16 v21, v29, v21
	v_mul_f16_sdwa v29, v22, s17 dst_sel:DWORD dst_unused:UNUSED_PAD src0_sel:WORD_1 src1_sel:DWORD
	v_fma_f16 v34, v31, s13, v29
	v_add_f16_e32 v26, v34, v26
	v_mul_f16_sdwa v34, v31, s13 dst_sel:DWORD dst_unused:UNUSED_PAD src0_sel:WORD_1 src1_sel:DWORD
	v_fma_f16 v29, v31, s13, -v29
	v_add_f16_e32 v24, v29, v24
	v_fma_f16 v29, v22, s17, v34
	v_add_f16_e32 v28, v29, v28
	v_mul_f16_sdwa v29, v22, s27 dst_sel:DWORD dst_unused:UNUSED_PAD src0_sel:WORD_1 src1_sel:DWORD
	v_fma_f16 v65, v22, s19, v34
	v_fma_f16 v34, v31, s15, v29
	v_add_f16_e32 v34, v34, v35
	v_mul_f16_sdwa v35, v31, s15 dst_sel:DWORD dst_unused:UNUSED_PAD src0_sel:WORD_1 src1_sel:DWORD
	v_fma_f16 v29, v31, s15, -v29
	v_add_f16_e32 v29, v29, v32
	v_fma_f16 v32, v22, s27, v35
	v_add_f16_e32 v32, v32, v33
	v_mul_f16_sdwa v33, v22, s25 dst_sel:DWORD dst_unused:UNUSED_PAD src0_sel:WORD_1 src1_sel:DWORD
	v_add_f16_e32 v45, v65, v45
	v_fma_f16 v65, v22, s26, v35
	v_fma_f16 v35, v31, s9, v33
	v_add_f16_e32 v35, v35, v48
	v_mul_f16_sdwa v48, v31, s9 dst_sel:DWORD dst_unused:UNUSED_PAD src0_sel:WORD_1 src1_sel:DWORD
	v_fma_f16 v33, v31, s9, -v33
	v_add_f16_e32 v33, v33, v46
	v_fma_f16 v46, v22, s25, v48
	v_add_f16_e32 v46, v46, v47
	v_mul_f16_sdwa v47, v22, s20 dst_sel:DWORD dst_unused:UNUSED_PAD src0_sel:WORD_1 src1_sel:DWORD
	v_add_f16_e32 v49, v65, v49
	;; [unrolled: 10-line block ×4, first 2 shown]
	v_fma_f16 v65, v22, s3, v55
	v_fma_f16 v55, v31, s8, v54
	v_add_f16_e32 v55, v55, v57
	v_mul_f16_sdwa v57, v31, s8 dst_sel:DWORD dst_unused:UNUSED_PAD src0_sel:WORD_1 src1_sel:DWORD
	v_fma_f16 v54, v31, s8, -v54
	v_add_f16_e32 v65, v65, v66
	v_fma_f16 v66, v22, s30, v57
	v_add_f16_e32 v54, v54, v56
	v_fma_f16 v56, v22, s18, v57
	v_mul_f16_sdwa v57, v22, s28 dst_sel:DWORD dst_unused:UNUSED_PAD src0_sel:WORD_1 src1_sel:DWORD
	v_add_f16_e32 v56, v56, v58
	v_fma_f16 v58, v31, s11, v57
	v_add_f16_e32 v58, v58, v59
	v_mul_f16_sdwa v59, v31, s11 dst_sel:DWORD dst_unused:UNUSED_PAD src0_sel:WORD_1 src1_sel:DWORD
	v_fma_f16 v57, v31, s11, -v57
	v_pk_mul_f16 v31, v31, s14 op_sel_hi:[1,0]
	v_fma_f16 v67, v22, s29, v59
	v_add_f16_e32 v57, v57, v60
	v_fma_f16 v59, v22, s28, v59
	v_pk_fma_f16 v60, v22, s22, v31 op_sel:[0,0,1] op_sel_hi:[1,0,0]
	v_pk_fma_f16 v22, v22, s22, v31 op_sel:[0,0,1] op_sel_hi:[1,0,0] neg_lo:[1,0,0] neg_hi:[1,0,0]
	v_add_f16_e32 v59, v59, v61
	v_pk_add_f16 v21, v22, v21
	v_mul_f16_sdwa v22, v23, s22 dst_sel:DWORD dst_unused:UNUSED_PAD src0_sel:WORD_1 src1_sel:DWORD
	v_fma_f16 v31, v30, s14, v22
	v_add_f16_e32 v26, v31, v26
	v_mul_f16_sdwa v31, v30, s14 dst_sel:DWORD dst_unused:UNUSED_PAD src0_sel:WORD_1 src1_sel:DWORD
	v_fma_f16 v22, v30, s14, -v22
	v_add_f16_e32 v22, v22, v24
	v_fma_f16 v24, v23, s22, v31
	v_add_f16_e32 v24, v24, v28
	v_mul_f16_sdwa v28, v23, s19 dst_sel:DWORD dst_unused:UNUSED_PAD src0_sel:WORD_1 src1_sel:DWORD
	v_fma_f16 v61, v23, s24, v31
	v_fma_f16 v31, v30, s13, v28
	v_add_f16_e32 v31, v31, v34
	v_mul_f16_sdwa v34, v30, s13 dst_sel:DWORD dst_unused:UNUSED_PAD src0_sel:WORD_1 src1_sel:DWORD
	v_fma_f16 v28, v30, s13, -v28
	v_add_f16_e32 v28, v28, v29
	v_fma_f16 v29, v23, s19, v34
	v_add_f16_e32 v29, v29, v32
	v_mul_f16_sdwa v32, v23, s28 dst_sel:DWORD dst_unused:UNUSED_PAD src0_sel:WORD_1 src1_sel:DWORD
	v_add_f16_e32 v45, v61, v45
	v_fma_f16 v61, v23, s17, v34
	v_fma_f16 v34, v30, s11, v32
	v_add_f16_e32 v34, v34, v35
	v_mul_f16_sdwa v35, v30, s11 dst_sel:DWORD dst_unused:UNUSED_PAD src0_sel:WORD_1 src1_sel:DWORD
	v_fma_f16 v32, v30, s11, -v32
	v_add_f16_e32 v49, v61, v49
	v_fma_f16 v61, v23, s29, v35
	v_add_f16_e32 v32, v32, v33
	v_fma_f16 v33, v23, s28, v35
	v_mul_f16_sdwa v35, v23, s26 dst_sel:DWORD dst_unused:UNUSED_PAD src0_sel:WORD_1 src1_sel:DWORD
	v_add_f16_e32 v33, v33, v46
	v_fma_f16 v46, v30, s15, v35
	v_add_f16_e32 v46, v46, v48
	v_mul_f16_sdwa v48, v30, s15 dst_sel:DWORD dst_unused:UNUSED_PAD src0_sel:WORD_1 src1_sel:DWORD
	v_fma_f16 v35, v30, s15, -v35
	v_add_f16_e32 v61, v61, v62
	v_fma_f16 v62, v23, s27, v48
	v_add_f16_e32 v35, v35, v47
	v_fma_f16 v47, v23, s26, v48
	v_mul_f16_sdwa v48, v23, s18 dst_sel:DWORD dst_unused:UNUSED_PAD src0_sel:WORD_1 src1_sel:DWORD
	v_add_f16_e32 v47, v47, v50
	v_fma_f16 v50, v30, s8, v48
	v_add_f16_e32 v50, v50, v52
	v_mul_f16_sdwa v52, v30, s8 dst_sel:DWORD dst_unused:UNUSED_PAD src0_sel:WORD_1 src1_sel:DWORD
	v_fma_f16 v48, v30, s8, -v48
	v_pk_add_f16 v60, v60, v63
	v_fma_f16 v63, v23, s30, v52
	v_add_f16_e32 v48, v48, v51
	v_fma_f16 v51, v23, s18, v52
	v_mul_f16_sdwa v52, v23, s23 dst_sel:DWORD dst_unused:UNUSED_PAD src0_sel:WORD_1 src1_sel:DWORD
	v_add_f16_e32 v51, v51, v53
	v_fma_f16 v53, v30, s9, v52
	v_add_f16_e32 v53, v53, v55
	v_mul_f16_sdwa v55, v30, s9 dst_sel:DWORD dst_unused:UNUSED_PAD src0_sel:WORD_1 src1_sel:DWORD
	v_fma_f16 v52, v30, s9, -v52
	v_add_f16_e32 v62, v62, v64
	v_fma_f16 v64, v23, s25, v55
	v_add_f16_e32 v52, v52, v54
	v_fma_f16 v54, v23, s23, v55
	v_mul_f16_sdwa v55, v23, s2 dst_sel:DWORD dst_unused:UNUSED_PAD src0_sel:WORD_1 src1_sel:DWORD
	v_add_f16_e32 v54, v54, v56
	v_fma_f16 v56, v30, s16, v55
	v_add_f16_e32 v56, v56, v58
	v_mul_f16_sdwa v58, v30, s16 dst_sel:DWORD dst_unused:UNUSED_PAD src0_sel:WORD_1 src1_sel:DWORD
	v_fma_f16 v55, v30, s16, -v55
	v_pk_mul_f16 v30, v30, s10 op_sel_hi:[1,0]
	v_add_f16_e32 v63, v63, v65
	v_fma_f16 v65, v23, s3, v58
	v_add_f16_e32 v55, v55, v57
	v_fma_f16 v57, v23, s2, v58
	v_pk_fma_f16 v58, v23, s21, v30 op_sel:[0,0,1] op_sel_hi:[1,0,0]
	v_pk_fma_f16 v23, v23, s21, v30 op_sel:[0,0,1] op_sel_hi:[1,0,0] neg_lo:[1,0,0] neg_hi:[1,0,0]
	v_add_f16_e32 v57, v57, v59
	v_pk_add_f16 v21, v23, v21
	v_mul_f16_sdwa v23, v25, s26 dst_sel:DWORD dst_unused:UNUSED_PAD src0_sel:WORD_1 src1_sel:DWORD
	v_fma_f16 v30, v27, s15, v23
	v_add_f16_e32 v26, v30, v26
	v_mul_f16_sdwa v30, v27, s15 dst_sel:DWORD dst_unused:UNUSED_PAD src0_sel:WORD_1 src1_sel:DWORD
	v_fma_f16 v23, v27, s15, -v23
	v_add_f16_e32 v22, v23, v22
	v_fma_f16 v23, v25, s26, v30
	v_add_f16_e32 v23, v23, v24
	v_mul_f16_sdwa v24, v25, s21 dst_sel:DWORD dst_unused:UNUSED_PAD src0_sel:WORD_1 src1_sel:DWORD
	v_fma_f16 v59, v25, s27, v30
	v_fma_f16 v30, v27, s10, v24
	v_add_f16_e32 v30, v30, v31
	v_mul_f16_sdwa v31, v27, s10 dst_sel:DWORD dst_unused:UNUSED_PAD src0_sel:WORD_1 src1_sel:DWORD
	v_fma_f16 v24, v27, s10, -v24
	v_add_f16_e32 v24, v24, v28
	v_fma_f16 v28, v25, s21, v31
	v_add_f16_e32 v28, v28, v29
	v_mul_f16_sdwa v29, v25, s30 dst_sel:DWORD dst_unused:UNUSED_PAD src0_sel:WORD_1 src1_sel:DWORD
	v_add_f16_e32 v45, v59, v45
	v_fma_f16 v59, v25, s20, v31
	v_fma_f16 v31, v27, s8, v29
	v_add_f16_e32 v31, v31, v34
	v_mul_f16_sdwa v34, v27, s8 dst_sel:DWORD dst_unused:UNUSED_PAD src0_sel:WORD_1 src1_sel:DWORD
	v_fma_f16 v29, v27, s8, -v29
	v_add_f16_e32 v29, v29, v32
	v_fma_f16 v32, v25, s30, v34
	v_add_f16_e32 v32, v32, v33
	v_mul_f16_sdwa v33, v25, s24 dst_sel:DWORD dst_unused:UNUSED_PAD src0_sel:WORD_1 src1_sel:DWORD
	v_add_f16_e32 v49, v59, v49
	v_fma_f16 v59, v25, s18, v34
	v_fma_f16 v34, v27, s14, v33
	v_add_f16_e32 v34, v34, v46
	v_mul_f16_sdwa v46, v27, s14 dst_sel:DWORD dst_unused:UNUSED_PAD src0_sel:WORD_1 src1_sel:DWORD
	v_fma_f16 v33, v27, s14, -v33
	v_pk_add_f16 v58, v58, v60
	v_fma_f16 v60, v25, s22, v46
	v_add_f16_e32 v33, v33, v35
	v_fma_f16 v35, v25, s24, v46
	v_mul_f16_sdwa v46, v25, s28 dst_sel:DWORD dst_unused:UNUSED_PAD src0_sel:WORD_1 src1_sel:DWORD
	v_add_f16_e32 v35, v35, v47
	v_fma_f16 v47, v27, s11, v46
	v_add_f16_e32 v47, v47, v50
	v_mul_f16_sdwa v50, v27, s11 dst_sel:DWORD dst_unused:UNUSED_PAD src0_sel:WORD_1 src1_sel:DWORD
	v_fma_f16 v46, v27, s11, -v46
	v_add_f16_e32 v59, v59, v61
	v_fma_f16 v61, v25, s29, v50
	v_add_f16_e32 v46, v46, v48
	v_fma_f16 v48, v25, s28, v50
	v_mul_f16_sdwa v50, v25, s2 dst_sel:DWORD dst_unused:UNUSED_PAD src0_sel:WORD_1 src1_sel:DWORD
	v_add_f16_e32 v48, v48, v51
	v_fma_f16 v51, v27, s16, v50
	v_add_f16_e32 v51, v51, v53
	v_mul_f16_sdwa v53, v27, s16 dst_sel:DWORD dst_unused:UNUSED_PAD src0_sel:WORD_1 src1_sel:DWORD
	v_fma_f16 v50, v27, s16, -v50
	v_add_f16_e32 v60, v60, v62
	v_fma_f16 v62, v25, s3, v53
	v_add_f16_e32 v50, v50, v52
	v_fma_f16 v52, v25, s2, v53
	v_mul_f16_sdwa v53, v25, s25 dst_sel:DWORD dst_unused:UNUSED_PAD src0_sel:WORD_1 src1_sel:DWORD
	v_add_f16_e32 v52, v52, v54
	v_fma_f16 v54, v27, s9, v53
	v_add_f16_e32 v54, v54, v56
	v_mul_f16_sdwa v56, v27, s9 dst_sel:DWORD dst_unused:UNUSED_PAD src0_sel:WORD_1 src1_sel:DWORD
	v_fma_f16 v53, v27, s9, -v53
	v_pk_mul_f16 v27, v27, s13 op_sel_hi:[1,0]
	v_add_f16_e32 v61, v61, v63
	v_fma_f16 v63, v25, s23, v56
	v_add_f16_e32 v53, v53, v55
	v_fma_f16 v55, v25, s25, v56
	v_pk_fma_f16 v56, v25, s17, v27 op_sel:[0,0,1] op_sel_hi:[1,0,0]
	v_pk_fma_f16 v25, v25, s17, v27 op_sel:[0,0,1] op_sel_hi:[1,0,0] neg_lo:[1,0,0] neg_hi:[1,0,0]
	v_alignbit_b32 v27, v2, v3, 16
	v_pk_add_f16 v21, v25, v21
	v_alignbit_b32 v25, v3, v2, 16
	v_pk_add_f16 v25, v25, v27
	v_pk_add_f16 v2, v2, v3 neg_lo:[0,1] neg_hi:[0,1]
	v_lshrrev_b32_e32 v3, 16, v25
	v_mul_f16_sdwa v27, v2, s2 dst_sel:DWORD dst_unused:UNUSED_PAD src0_sel:WORD_1 src1_sel:DWORD
	v_add_f16_e32 v55, v55, v57
	v_fma_f16 v57, v3, s16, v27
	v_add_f16_e32 v26, v57, v26
	v_mul_f16_e32 v57, 0xbbdd, v25
	v_fma_f16 v27, v3, s16, -v27
	v_add_f16_e32 v22, v27, v22
	v_fma_f16 v27, v2, s2, v57
	v_add_f16_e32 v23, v27, v23
	v_mul_f16_sdwa v27, v2, s29 dst_sel:DWORD dst_unused:UNUSED_PAD src0_sel:WORD_1 src1_sel:DWORD
	v_pk_add_f16 v56, v56, v58
	v_fma_f16 v58, v2, s3, v57
	v_fma_f16 v57, v3, s11, v27
	v_add_f16_e32 v30, v57, v30
	v_mul_f16_e32 v57, 0x3b76, v25
	v_fma_f16 v27, v3, s11, -v27
	v_add_f16_e32 v24, v27, v24
	v_fma_f16 v27, v2, s29, v57
	v_add_f16_e32 v28, v27, v28
	v_mul_f16_sdwa v27, v2, s26 dst_sel:DWORD dst_unused:UNUSED_PAD src0_sel:WORD_1 src1_sel:DWORD
	v_add_f16_e32 v45, v58, v45
	v_fma_f16 v58, v2, s28, v57
	v_fma_f16 v57, v3, s15, v27
	v_add_f16_e32 v31, v57, v31
	v_mul_f16_e32 v57, 0xbacd, v25
	v_fma_f16 v27, v3, s15, -v27
	v_add_f16_e32 v29, v27, v29
	v_fma_f16 v27, v2, s26, v57
	v_add_f16_e32 v32, v27, v32
	v_mul_f16_sdwa v27, v2, s25 dst_sel:DWORD dst_unused:UNUSED_PAD src0_sel:WORD_1 src1_sel:DWORD
	v_add_f16_e32 v49, v58, v49
	;; [unrolled: 10-line block ×4, first 2 shown]
	v_fma_f16 v60, v2, s24, v57
	v_fma_f16 v57, v3, s10, v27
	v_add_f16_e32 v51, v57, v51
	v_mul_f16_e32 v57, 0x3722, v25
	v_fma_f16 v27, v3, s10, -v27
	v_add_f16_e32 v50, v27, v50
	v_fma_f16 v27, v2, s21, v57
	v_add_f16_e32 v70, v73, v70
	v_add_f16_e32 v66, v66, v68
	;; [unrolled: 1-line block ×3, first 2 shown]
	v_mul_f16_sdwa v27, v2, s17 dst_sel:DWORD dst_unused:UNUSED_PAD src0_sel:WORD_1 src1_sel:DWORD
	v_add_f16_e32 v70, v71, v70
	v_add_f16_e32 v64, v64, v66
	;; [unrolled: 1-line block ×3, first 2 shown]
	v_fma_f16 v61, v2, s20, v57
	v_fma_f16 v57, v3, s13, v27
	v_add_f16_e32 v69, v69, v70
	v_add_f16_e32 v62, v62, v64
	;; [unrolled: 1-line block ×3, first 2 shown]
	v_mul_f16_e32 v57, 0xb461, v25
	v_fma_f16 v3, v3, s13, -v27
	v_add_f16_e32 v67, v67, v69
	v_add_f16_e32 v61, v61, v62
	v_fma_f16 v62, v2, s19, v57
	v_add_f16_e32 v53, v3, v53
	v_fma_f16 v3, v2, s17, v57
	v_pk_mul_f16 v2, v2, s18 op_sel_hi:[1,0]
	v_add_f16_e32 v65, v65, v67
	v_add_f16_e32 v55, v3, v55
	v_pk_fma_f16 v3, v25, s8, v2 op_sel_hi:[1,0,1]
	v_pk_fma_f16 v2, v25, s8, v2 op_sel_hi:[1,0,1] neg_lo:[0,0,1] neg_hi:[0,0,1]
	v_add_f16_e32 v63, v63, v65
	v_pk_add_f16 v21, v2, v21
	v_pack_b32_f16 v2, v30, v49
	v_pack_b32_f16 v25, v34, v59
	;; [unrolled: 1-line block ×3, first 2 shown]
	v_add_f16_e32 v62, v62, v63
	ds_write2_b32 v36, v30, v25 offset0:3 offset1:4
	v_pack_b32_f16 v25, v51, v61
	v_pack_b32_f16 v30, v47, v60
	v_pk_add_f16 v56, v3, v56
	ds_write2_b32 v36, v30, v25 offset0:5 offset1:6
	v_pack_b32_f16 v25, v54, v62
	ds_write2_b32 v36, v1, v25 offset1:7
	v_alignbit_b32 v1, v56, v21, 16
	v_alignbit_b32 v21, v21, v56, 16
	ds_write2_b32 v36, v21, v1 offset0:8 offset1:9
	v_pack_b32_f16 v1, v50, v52
	v_pack_b32_f16 v21, v53, v55
	ds_write2_b32 v36, v21, v1 offset0:10 offset1:11
	v_pack_b32_f16 v1, v33, v35
	v_pack_b32_f16 v21, v46, v48
	;; [unrolled: 3-line block ×3, first 2 shown]
	v_pack_b32_f16 v3, v26, v45
	ds_write2_b32 v36, v21, v1 offset0:14 offset1:15
	v_pack_b32_f16 v1, v22, v23
	ds_write2_b32 v36, v3, v2 offset0:1 offset1:2
	ds_write_b32 v36, v1 offset:64
	s_waitcnt lgkmcnt(0)
	s_barrier
	ds_read2_b32 v[24:25], v36 offset1:1
	v_mov_b32_e32 v2, s0
	v_mov_b32_e32 v3, s1
	v_mad_u64_u32 v[26:27], s[0:1], s6, v20, 0
	s_waitcnt lgkmcnt(0)
	v_lshrrev_b32_e32 v33, 16, v24
	v_mul_f16_sdwa v1, v16, v33 dst_sel:DWORD dst_unused:UNUSED_PAD src0_sel:WORD_1 src1_sel:DWORD
	v_fma_f16 v1, v16, v24, v1
	v_cvt_f32_f16_e32 v1, v1
	v_mov_b32_e32 v32, v27
	v_mad_u64_u32 v[20:21], s[0:1], s7, v20, v[32:33]
	s_mov_b32 s2, 0x1e1e1e1e
	v_mov_b32_e32 v27, v20
	v_cvt_f64_f32_e32 v[20:21], v1
	s_mov_b32 s3, 0x3fae1e1e
	v_mul_f64 v[20:21], v[20:21], s[2:3]
	s_movk_i32 s6, 0x1ff
	v_and_or_b32 v1, v21, s6, v20
	v_cmp_ne_u32_e32 vcc, 0, v1
	v_lshrrev_b32_e32 v20, 8, v21
	s_movk_i32 s7, 0xffe
	v_cndmask_b32_e64 v1, 0, 1, vcc
	v_bfe_u32 v34, v21, 20, 11
	v_and_or_b32 v20, v20, s7, v1
	v_sub_u32_e32 v35, 0x3f1, v34
	v_or_b32_e32 v1, 0x1000, v20
	v_med3_i32 v35, v35, 0, 13
	v_lshrrev_b32_e32 v45, v35, v1
	v_lshlrev_b32_e32 v35, v35, v45
	v_cmp_ne_u32_e32 vcc, v35, v1
	v_add_u32_e32 v34, 0xfffffc10, v34
	v_lshl_or_b32 v35, v34, 12, v20
	v_cndmask_b32_e64 v1, 0, 1, vcc
	v_or_b32_e32 v1, v45, v1
	v_cmp_gt_i32_e32 vcc, 1, v34
	v_mul_f16_sdwa v24, v16, v24 dst_sel:DWORD dst_unused:UNUSED_PAD src0_sel:WORD_1 src1_sel:DWORD
	v_fma_f16 v16, v16, v33, -v24
	v_cndmask_b32_e32 v1, v35, v1, vcc
	v_and_b32_e32 v35, 7, v1
	v_cmp_lt_i32_e32 vcc, 5, v35
	v_cmp_eq_u32_e64 s[0:1], 3, v35
	v_lshrrev_b32_e32 v1, 2, v1
	s_or_b64 vcc, s[0:1], vcc
	v_addc_co_u32_e32 v35, vcc, 0, v1, vcc
	v_mov_b32_e32 v1, 0x7c00
	v_cmp_gt_i32_e32 vcc, 31, v34
	v_cvt_f32_f16_e32 v16, v16
	s_movk_i32 s8, 0x40f
	v_cndmask_b32_e32 v35, v1, v35, vcc
	v_cmp_ne_u32_e32 vcc, 0, v20
	s_mov_b32 s9, 0x8000
	v_and_b32_sdwa v33, v21, s9 dst_sel:DWORD dst_unused:UNUSED_PAD src0_sel:WORD_1 src1_sel:DWORD
	v_cndmask_b32_e64 v20, 0, 1, vcc
	v_lshl_or_b32 v20, v20, 9, v1
	v_cmp_eq_u32_e32 vcc, s8, v34
	v_lshrrev_b32_e32 v32, 16, v25
	v_lshl_add_u64 v[2:3], v[26:27], 2, v[2:3]
	v_cndmask_b32_e32 v24, v35, v20, vcc
	v_cvt_f64_f32_e32 v[20:21], v16
	v_mul_f64 v[20:21], v[20:21], s[2:3]
	v_and_or_b32 v16, v21, s6, v20
	v_cmp_ne_u32_e32 vcc, 0, v16
	v_lshrrev_b32_e32 v20, 8, v21
	v_bfe_u32 v34, v21, 20, 11
	v_cndmask_b32_e64 v16, 0, 1, vcc
	v_and_or_b32 v16, v20, s7, v16
	v_sub_u32_e32 v35, 0x3f1, v34
	v_or_b32_e32 v20, 0x1000, v16
	v_med3_i32 v35, v35, 0, 13
	v_lshrrev_b32_e32 v45, v35, v20
	v_lshlrev_b32_e32 v35, v35, v45
	v_cmp_ne_u32_e32 vcc, v35, v20
	v_add_u32_e32 v34, 0xfffffc10, v34
	v_lshl_or_b32 v35, v34, 12, v16
	v_cndmask_b32_e64 v20, 0, 1, vcc
	v_or_b32_e32 v20, v45, v20
	v_cmp_gt_i32_e32 vcc, 1, v34
	ds_read2_b32 v[28:29], v36 offset0:2 offset1:3
	ds_read2_b32 v[30:31], v36 offset0:4 offset1:5
	;; [unrolled: 1-line block ×3, first 2 shown]
	v_cndmask_b32_e32 v20, v35, v20, vcc
	v_and_b32_e32 v35, 7, v20
	v_cmp_lt_i32_e32 vcc, 5, v35
	v_cmp_eq_u32_e64 s[0:1], 3, v35
	v_lshrrev_b32_e32 v20, 2, v20
	s_or_b64 vcc, s[0:1], vcc
	v_addc_co_u32_e32 v20, vcc, 0, v20, vcc
	v_cmp_gt_i32_e32 vcc, 31, v34
	s_nop 1
	v_cndmask_b32_e32 v20, v1, v20, vcc
	v_cmp_ne_u32_e32 vcc, 0, v16
	s_nop 1
	v_cndmask_b32_e64 v16, 0, 1, vcc
	v_lshl_or_b32 v16, v16, 9, v1
	v_cmp_eq_u32_e32 vcc, s8, v34
	s_nop 1
	v_cndmask_b32_e32 v16, v20, v16, vcc
	v_lshrrev_b32_e32 v20, 16, v21
	v_mul_f16_e32 v21, v44, v32
	v_fma_f16 v21, v17, v25, v21
	v_cvt_f32_f16_e32 v21, v21
	v_and_or_b32 v16, v20, s9, v16
	v_bitop3_b32 v20, v33, s12, v24 bitop3:0xc8
	v_lshl_or_b32 v16, v16, 16, v20
	v_cvt_f64_f32_e32 v[20:21], v21
	v_mul_f64 v[20:21], v[20:21], s[2:3]
	global_store_dword v[2:3], v16, off
	v_and_or_b32 v16, v21, s6, v20
	v_cmp_ne_u32_e32 vcc, 0, v16
	v_lshrrev_b32_e32 v20, 8, v21
	v_bfe_u32 v24, v21, 20, 11
	v_cndmask_b32_e64 v16, 0, 1, vcc
	v_and_or_b32 v16, v20, s7, v16
	v_sub_u32_e32 v26, 0x3f1, v24
	v_or_b32_e32 v20, 0x1000, v16
	v_med3_i32 v26, v26, 0, 13
	v_lshrrev_b32_e32 v27, v26, v20
	v_lshlrev_b32_e32 v26, v26, v27
	v_cmp_ne_u32_e32 vcc, v26, v20
	v_add_u32_e32 v24, 0xfffffc10, v24
	v_lshl_or_b32 v26, v24, 12, v16
	v_cndmask_b32_e64 v20, 0, 1, vcc
	v_or_b32_e32 v20, v27, v20
	v_cmp_gt_i32_e32 vcc, 1, v24
	v_mul_f16_e32 v25, v44, v25
	v_fma_f16 v17, v17, v32, -v25
	v_cndmask_b32_e32 v20, v26, v20, vcc
	v_and_b32_e32 v26, 7, v20
	v_cmp_lt_i32_e32 vcc, 5, v26
	v_cmp_eq_u32_e64 s[0:1], 3, v26
	v_lshrrev_b32_e32 v20, 2, v20
	s_or_b64 vcc, s[0:1], vcc
	v_addc_co_u32_e32 v20, vcc, 0, v20, vcc
	v_cmp_gt_i32_e32 vcc, 31, v24
	v_cvt_f32_f16_e32 v17, v17
	v_and_b32_sdwa v21, v21, s9 dst_sel:DWORD dst_unused:UNUSED_PAD src0_sel:WORD_1 src1_sel:DWORD
	v_cndmask_b32_e32 v20, v1, v20, vcc
	v_cmp_ne_u32_e32 vcc, 0, v16
	s_nop 1
	v_cndmask_b32_e64 v16, 0, 1, vcc
	v_lshl_or_b32 v16, v16, 9, v1
	v_cmp_eq_u32_e32 vcc, s8, v24
	s_nop 1
	v_cndmask_b32_e32 v20, v20, v16, vcc
	v_cvt_f64_f32_e32 v[16:17], v17
	v_mul_f64 v[16:17], v[16:17], s[2:3]
	v_and_or_b32 v16, v17, s6, v16
	v_cmp_ne_u32_e32 vcc, 0, v16
	v_lshrrev_b32_e32 v24, 8, v17
	v_bfe_u32 v25, v17, 20, 11
	v_cndmask_b32_e64 v16, 0, 1, vcc
	v_and_or_b32 v16, v24, s7, v16
	v_sub_u32_e32 v26, 0x3f1, v25
	v_or_b32_e32 v24, 0x1000, v16
	v_med3_i32 v26, v26, 0, 13
	v_lshrrev_b32_e32 v27, v26, v24
	v_lshlrev_b32_e32 v26, v26, v27
	v_cmp_ne_u32_e32 vcc, v26, v24
	v_add_u32_e32 v25, 0xfffffc10, v25
	v_lshl_or_b32 v26, v25, 12, v16
	v_cndmask_b32_e64 v24, 0, 1, vcc
	v_or_b32_e32 v24, v27, v24
	v_cmp_gt_i32_e32 vcc, 1, v25
	v_lshrrev_b32_e32 v17, 16, v17
	s_nop 0
	v_cndmask_b32_e32 v24, v26, v24, vcc
	v_and_b32_e32 v26, 7, v24
	v_cmp_lt_i32_e32 vcc, 5, v26
	v_cmp_eq_u32_e64 s[0:1], 3, v26
	v_lshrrev_b32_e32 v24, 2, v24
	s_or_b64 vcc, s[0:1], vcc
	v_addc_co_u32_e32 v24, vcc, 0, v24, vcc
	v_cmp_gt_i32_e32 vcc, 31, v25
	s_nop 1
	v_cndmask_b32_e32 v24, v1, v24, vcc
	v_cmp_ne_u32_e32 vcc, 0, v16
	s_nop 1
	v_cndmask_b32_e64 v16, 0, 1, vcc
	v_lshl_or_b32 v16, v16, 9, v1
	v_cmp_eq_u32_e32 vcc, s8, v25
	s_nop 1
	v_cndmask_b32_e32 v16, v24, v16, vcc
	v_and_or_b32 v16, v17, s9, v16
	v_bitop3_b32 v17, v21, s12, v20 bitop3:0xc8
	s_waitcnt lgkmcnt(2)
	v_lshrrev_b32_e32 v21, 16, v28
	v_lshl_or_b32 v20, v16, 16, v17
	v_mul_f16_sdwa v16, v18, v21 dst_sel:DWORD dst_unused:UNUSED_PAD src0_sel:WORD_1 src1_sel:DWORD
	v_fma_f16 v16, v18, v28, v16
	v_cvt_f32_f16_e32 v24, v16
	v_lshl_add_u64 v[16:17], s[4:5], 2, v[2:3]
	global_store_dword v[16:17], v20, off
	v_lshrrev_b32_e32 v20, 16, v29
	v_cvt_f64_f32_e32 v[16:17], v24
	v_mul_f64 v[16:17], v[16:17], s[2:3]
	v_and_or_b32 v16, v17, s6, v16
	v_cmp_ne_u32_e32 vcc, 0, v16
	v_lshrrev_b32_e32 v24, 8, v17
	v_bfe_u32 v25, v17, 20, 11
	v_cndmask_b32_e64 v16, 0, 1, vcc
	v_and_or_b32 v16, v24, s7, v16
	v_sub_u32_e32 v26, 0x3f1, v25
	v_or_b32_e32 v24, 0x1000, v16
	v_med3_i32 v26, v26, 0, 13
	v_lshrrev_b32_e32 v27, v26, v24
	v_lshlrev_b32_e32 v26, v26, v27
	v_cmp_ne_u32_e32 vcc, v26, v24
	v_add_u32_e32 v25, 0xfffffc10, v25
	v_lshl_or_b32 v26, v25, 12, v16
	v_cndmask_b32_e64 v24, 0, 1, vcc
	v_or_b32_e32 v24, v27, v24
	v_cmp_gt_i32_e32 vcc, 1, v25
	s_nop 1
	v_cndmask_b32_e32 v24, v26, v24, vcc
	v_and_b32_e32 v26, 7, v24
	v_cmp_lt_i32_e32 vcc, 5, v26
	v_cmp_eq_u32_e64 s[0:1], 3, v26
	v_lshrrev_b32_e32 v24, 2, v24
	s_or_b64 vcc, s[0:1], vcc
	v_mul_f16_sdwa v26, v18, v28 dst_sel:DWORD dst_unused:UNUSED_PAD src0_sel:WORD_1 src1_sel:DWORD
	v_addc_co_u32_e32 v24, vcc, 0, v24, vcc
	v_fma_f16 v18, v18, v21, -v26
	v_cmp_gt_i32_e32 vcc, 31, v25
	v_cvt_f32_f16_e32 v18, v18
	s_nop 0
	v_cndmask_b32_e32 v24, v1, v24, vcc
	v_cmp_ne_u32_e32 vcc, 0, v16
	s_nop 1
	v_cndmask_b32_e64 v16, 0, 1, vcc
	v_lshl_or_b32 v16, v16, 9, v1
	v_cmp_eq_u32_e32 vcc, s8, v25
	s_nop 1
	v_cndmask_b32_e32 v21, v24, v16, vcc
	v_and_b32_sdwa v24, v17, s9 dst_sel:DWORD dst_unused:UNUSED_PAD src0_sel:WORD_1 src1_sel:DWORD
	v_cvt_f64_f32_e32 v[16:17], v18
	v_mul_f64 v[16:17], v[16:17], s[2:3]
	v_and_or_b32 v16, v17, s6, v16
	v_cmp_ne_u32_e32 vcc, 0, v16
	v_lshrrev_b32_e32 v18, 8, v17
	v_bfe_u32 v25, v17, 20, 11
	v_cndmask_b32_e64 v16, 0, 1, vcc
	v_and_or_b32 v16, v18, s7, v16
	v_sub_u32_e32 v26, 0x3f1, v25
	v_or_b32_e32 v18, 0x1000, v16
	v_med3_i32 v26, v26, 0, 13
	v_lshrrev_b32_e32 v27, v26, v18
	v_lshlrev_b32_e32 v26, v26, v27
	v_cmp_ne_u32_e32 vcc, v26, v18
	v_add_u32_e32 v25, 0xfffffc10, v25
	v_lshl_or_b32 v26, v25, 12, v16
	v_cndmask_b32_e64 v18, 0, 1, vcc
	v_or_b32_e32 v18, v27, v18
	v_cmp_gt_i32_e32 vcc, 1, v25
	v_lshrrev_b32_e32 v17, 16, v17
	s_nop 0
	v_cndmask_b32_e32 v18, v26, v18, vcc
	v_and_b32_e32 v26, 7, v18
	v_cmp_lt_i32_e32 vcc, 5, v26
	v_cmp_eq_u32_e64 s[0:1], 3, v26
	v_lshrrev_b32_e32 v18, 2, v18
	s_or_b64 vcc, s[0:1], vcc
	v_addc_co_u32_e32 v18, vcc, 0, v18, vcc
	v_cmp_gt_i32_e32 vcc, 31, v25
	s_nop 1
	v_cndmask_b32_e32 v18, v1, v18, vcc
	v_cmp_ne_u32_e32 vcc, 0, v16
	s_nop 1
	v_cndmask_b32_e64 v16, 0, 1, vcc
	v_lshl_or_b32 v16, v16, 9, v1
	v_cmp_eq_u32_e32 vcc, s8, v25
	s_nop 1
	v_cndmask_b32_e32 v16, v18, v16, vcc
	v_mul_f16_e32 v18, v43, v20
	v_fma_f16 v18, v19, v29, v18
	v_cvt_f32_f16_e32 v18, v18
	v_and_or_b32 v16, v17, s9, v16
	v_bitop3_b32 v17, v24, s12, v21 bitop3:0xc8
	v_lshl_or_b32 v21, v16, 16, v17
	v_lshl_add_u64 v[16:17], s[4:5], 3, v[2:3]
	global_store_dword v[16:17], v21, off
	v_cvt_f64_f32_e32 v[16:17], v18
	v_mul_f64 v[16:17], v[16:17], s[2:3]
	v_and_or_b32 v16, v17, s6, v16
	v_cmp_ne_u32_e32 vcc, 0, v16
	v_lshrrev_b32_e32 v18, 8, v17
	v_bfe_u32 v21, v17, 20, 11
	v_cndmask_b32_e64 v16, 0, 1, vcc
	v_and_or_b32 v16, v18, s7, v16
	v_sub_u32_e32 v24, 0x3f1, v21
	v_or_b32_e32 v18, 0x1000, v16
	v_med3_i32 v24, v24, 0, 13
	v_lshrrev_b32_e32 v25, v24, v18
	v_lshlrev_b32_e32 v24, v24, v25
	v_cmp_ne_u32_e32 vcc, v24, v18
	v_add_u32_e32 v21, 0xfffffc10, v21
	v_lshl_or_b32 v24, v21, 12, v16
	v_cndmask_b32_e64 v18, 0, 1, vcc
	v_or_b32_e32 v18, v25, v18
	v_cmp_gt_i32_e32 vcc, 1, v21
	s_nop 1
	v_cndmask_b32_e32 v18, v24, v18, vcc
	v_and_b32_e32 v24, 7, v18
	v_cmp_lt_i32_e32 vcc, 5, v24
	v_cmp_eq_u32_e64 s[0:1], 3, v24
	v_lshrrev_b32_e32 v18, 2, v18
	s_or_b64 vcc, s[0:1], vcc
	v_mul_f16_e32 v24, v43, v29
	v_addc_co_u32_e32 v18, vcc, 0, v18, vcc
	v_fma_f16 v19, v19, v20, -v24
	v_cmp_gt_i32_e32 vcc, 31, v21
	v_cvt_f32_f16_e32 v19, v19
	v_and_b32_sdwa v20, v17, s9 dst_sel:DWORD dst_unused:UNUSED_PAD src0_sel:WORD_1 src1_sel:DWORD
	v_cndmask_b32_e32 v18, v1, v18, vcc
	v_cmp_ne_u32_e32 vcc, 0, v16
	s_nop 1
	v_cndmask_b32_e64 v16, 0, 1, vcc
	v_lshl_or_b32 v16, v16, 9, v1
	v_cmp_eq_u32_e32 vcc, s8, v21
	s_nop 1
	v_cndmask_b32_e32 v18, v18, v16, vcc
	v_cvt_f64_f32_e32 v[16:17], v19
	v_mul_f64 v[16:17], v[16:17], s[2:3]
	v_and_or_b32 v16, v17, s6, v16
	v_cmp_ne_u32_e32 vcc, 0, v16
	v_lshrrev_b32_e32 v19, 8, v17
	v_bfe_u32 v21, v17, 20, 11
	v_cndmask_b32_e64 v16, 0, 1, vcc
	v_and_or_b32 v16, v19, s7, v16
	v_sub_u32_e32 v24, 0x3f1, v21
	v_or_b32_e32 v19, 0x1000, v16
	v_med3_i32 v24, v24, 0, 13
	v_lshrrev_b32_e32 v25, v24, v19
	v_lshlrev_b32_e32 v24, v24, v25
	v_cmp_ne_u32_e32 vcc, v24, v19
	v_add_u32_e32 v21, 0xfffffc10, v21
	v_lshl_or_b32 v24, v21, 12, v16
	v_cndmask_b32_e64 v19, 0, 1, vcc
	v_or_b32_e32 v19, v25, v19
	v_cmp_gt_i32_e32 vcc, 1, v21
	v_lshrrev_b32_e32 v17, 16, v17
	s_nop 0
	v_cndmask_b32_e32 v19, v24, v19, vcc
	v_and_b32_e32 v24, 7, v19
	v_cmp_lt_i32_e32 vcc, 5, v24
	v_cmp_eq_u32_e64 s[0:1], 3, v24
	v_lshrrev_b32_e32 v19, 2, v19
	s_or_b64 vcc, s[0:1], vcc
	v_addc_co_u32_e32 v19, vcc, 0, v19, vcc
	v_cmp_gt_i32_e32 vcc, 31, v21
	s_nop 1
	v_cndmask_b32_e32 v19, v1, v19, vcc
	v_cmp_ne_u32_e32 vcc, 0, v16
	s_nop 1
	v_cndmask_b32_e64 v16, 0, 1, vcc
	v_lshl_or_b32 v16, v16, 9, v1
	v_cmp_eq_u32_e32 vcc, s8, v21
	s_nop 1
	v_cndmask_b32_e32 v16, v19, v16, vcc
	v_and_or_b32 v16, v17, s9, v16
	v_bitop3_b32 v17, v20, s12, v18 bitop3:0xc8
	v_lshl_or_b32 v20, v16, 16, v17
	v_mad_u64_u32 v[16:17], s[0:1], s4, 12, v[2:3]
	v_mov_b32_e32 v18, v17
	v_mad_u64_u32 v[18:19], s[0:1], s5, 12, v[18:19]
	s_waitcnt lgkmcnt(1)
	v_lshrrev_b32_e32 v19, 16, v30
	v_mul_f16_sdwa v17, v12, v19 dst_sel:DWORD dst_unused:UNUSED_PAD src0_sel:WORD_1 src1_sel:DWORD
	v_fma_f16 v17, v12, v30, v17
	v_cvt_f32_f16_e32 v21, v17
	v_mov_b32_e32 v17, v18
	global_store_dword v[16:17], v20, off
	v_lshrrev_b32_e32 v18, 16, v31
	v_cvt_f64_f32_e32 v[16:17], v21
	v_mul_f64 v[16:17], v[16:17], s[2:3]
	v_and_or_b32 v16, v17, s6, v16
	v_cmp_ne_u32_e32 vcc, 0, v16
	v_lshrrev_b32_e32 v20, 8, v17
	v_bfe_u32 v21, v17, 20, 11
	v_cndmask_b32_e64 v16, 0, 1, vcc
	v_and_or_b32 v16, v20, s7, v16
	v_sub_u32_e32 v24, 0x3f1, v21
	v_or_b32_e32 v20, 0x1000, v16
	v_med3_i32 v24, v24, 0, 13
	v_lshrrev_b32_e32 v25, v24, v20
	v_lshlrev_b32_e32 v24, v24, v25
	v_cmp_ne_u32_e32 vcc, v24, v20
	v_add_u32_e32 v21, 0xfffffc10, v21
	v_lshl_or_b32 v24, v21, 12, v16
	v_cndmask_b32_e64 v20, 0, 1, vcc
	v_or_b32_e32 v20, v25, v20
	v_cmp_gt_i32_e32 vcc, 1, v21
	s_nop 1
	v_cndmask_b32_e32 v20, v24, v20, vcc
	v_and_b32_e32 v24, 7, v20
	v_cmp_lt_i32_e32 vcc, 5, v24
	v_cmp_eq_u32_e64 s[0:1], 3, v24
	v_lshrrev_b32_e32 v20, 2, v20
	s_or_b64 vcc, s[0:1], vcc
	v_mul_f16_sdwa v24, v12, v30 dst_sel:DWORD dst_unused:UNUSED_PAD src0_sel:WORD_1 src1_sel:DWORD
	v_addc_co_u32_e32 v20, vcc, 0, v20, vcc
	v_fma_f16 v12, v12, v19, -v24
	v_cmp_gt_i32_e32 vcc, 31, v21
	v_cvt_f32_f16_e32 v12, v12
	s_nop 0
	v_cndmask_b32_e32 v20, v1, v20, vcc
	v_cmp_ne_u32_e32 vcc, 0, v16
	s_nop 1
	v_cndmask_b32_e64 v16, 0, 1, vcc
	v_lshl_or_b32 v16, v16, 9, v1
	v_cmp_eq_u32_e32 vcc, s8, v21
	s_nop 1
	v_cndmask_b32_e32 v19, v20, v16, vcc
	v_and_b32_sdwa v20, v17, s9 dst_sel:DWORD dst_unused:UNUSED_PAD src0_sel:WORD_1 src1_sel:DWORD
	v_cvt_f64_f32_e32 v[16:17], v12
	v_mul_f64 v[16:17], v[16:17], s[2:3]
	v_and_or_b32 v12, v17, s6, v16
	v_cmp_ne_u32_e32 vcc, 0, v12
	v_lshrrev_b32_e32 v16, 8, v17
	v_bfe_u32 v21, v17, 20, 11
	v_cndmask_b32_e64 v12, 0, 1, vcc
	v_and_or_b32 v12, v16, s7, v12
	v_sub_u32_e32 v24, 0x3f1, v21
	v_or_b32_e32 v16, 0x1000, v12
	v_med3_i32 v24, v24, 0, 13
	v_lshrrev_b32_e32 v25, v24, v16
	v_lshlrev_b32_e32 v24, v24, v25
	v_cmp_ne_u32_e32 vcc, v24, v16
	v_add_u32_e32 v21, 0xfffffc10, v21
	v_lshl_or_b32 v24, v21, 12, v12
	v_cndmask_b32_e64 v16, 0, 1, vcc
	v_or_b32_e32 v16, v25, v16
	v_cmp_gt_i32_e32 vcc, 1, v21
	s_nop 1
	v_cndmask_b32_e32 v16, v24, v16, vcc
	v_and_b32_e32 v24, 7, v16
	v_cmp_lt_i32_e32 vcc, 5, v24
	v_cmp_eq_u32_e64 s[0:1], 3, v24
	v_lshrrev_b32_e32 v16, 2, v16
	s_or_b64 vcc, s[0:1], vcc
	v_addc_co_u32_e32 v16, vcc, 0, v16, vcc
	v_cmp_gt_i32_e32 vcc, 31, v21
	s_nop 1
	v_cndmask_b32_e32 v16, v1, v16, vcc
	v_cmp_ne_u32_e32 vcc, 0, v12
	s_nop 1
	v_cndmask_b32_e64 v12, 0, 1, vcc
	v_lshl_or_b32 v12, v12, 9, v1
	v_cmp_eq_u32_e32 vcc, s8, v21
	s_nop 1
	v_cndmask_b32_e32 v12, v16, v12, vcc
	v_lshrrev_b32_e32 v16, 16, v17
	v_mul_f16_e32 v17, v42, v18
	v_fma_f16 v17, v13, v31, v17
	v_and_or_b32 v12, v16, s9, v12
	v_bitop3_b32 v16, v20, s12, v19 bitop3:0xc8
	v_cvt_f32_f16_e32 v19, v17
	v_lshl_or_b32 v12, v12, 16, v16
	v_lshl_add_u64 v[16:17], s[4:5], 4, v[2:3]
	global_store_dword v[16:17], v12, off
	v_cvt_f64_f32_e32 v[16:17], v19
	v_mul_f64 v[16:17], v[16:17], s[2:3]
	v_and_or_b32 v12, v17, s6, v16
	v_cmp_ne_u32_e32 vcc, 0, v12
	v_lshrrev_b32_e32 v16, 8, v17
	v_bfe_u32 v19, v17, 20, 11
	v_cndmask_b32_e64 v12, 0, 1, vcc
	v_and_or_b32 v12, v16, s7, v12
	v_sub_u32_e32 v20, 0x3f1, v19
	v_or_b32_e32 v16, 0x1000, v12
	v_med3_i32 v20, v20, 0, 13
	v_lshrrev_b32_e32 v21, v20, v16
	v_lshlrev_b32_e32 v20, v20, v21
	v_cmp_ne_u32_e32 vcc, v20, v16
	v_add_u32_e32 v19, 0xfffffc10, v19
	v_lshl_or_b32 v20, v19, 12, v12
	v_cndmask_b32_e64 v16, 0, 1, vcc
	v_or_b32_e32 v16, v21, v16
	v_cmp_gt_i32_e32 vcc, 1, v19
	v_and_b32_sdwa v17, v17, s9 dst_sel:DWORD dst_unused:UNUSED_PAD src0_sel:WORD_1 src1_sel:DWORD
	s_nop 0
	v_cndmask_b32_e32 v16, v20, v16, vcc
	v_and_b32_e32 v20, 7, v16
	v_cmp_lt_i32_e32 vcc, 5, v20
	v_cmp_eq_u32_e64 s[0:1], 3, v20
	v_lshrrev_b32_e32 v16, 2, v16
	s_or_b64 vcc, s[0:1], vcc
	v_mul_f16_e32 v20, v42, v31
	v_addc_co_u32_e32 v16, vcc, 0, v16, vcc
	v_fma_f16 v13, v13, v18, -v20
	v_cmp_gt_i32_e32 vcc, 31, v19
	v_cvt_f32_f16_e32 v13, v13
	s_nop 0
	v_cndmask_b32_e32 v16, v1, v16, vcc
	v_cmp_ne_u32_e32 vcc, 0, v12
	s_nop 1
	v_cndmask_b32_e64 v12, 0, 1, vcc
	v_lshl_or_b32 v12, v12, 9, v1
	v_cmp_eq_u32_e32 vcc, s8, v19
	s_nop 1
	v_cndmask_b32_e32 v16, v16, v12, vcc
	v_cvt_f64_f32_e32 v[12:13], v13
	v_mul_f64 v[12:13], v[12:13], s[2:3]
	v_and_or_b32 v12, v13, s6, v12
	v_cmp_ne_u32_e32 vcc, 0, v12
	v_lshrrev_b32_e32 v18, 8, v13
	v_bfe_u32 v19, v13, 20, 11
	v_cndmask_b32_e64 v12, 0, 1, vcc
	v_and_or_b32 v12, v18, s7, v12
	v_sub_u32_e32 v20, 0x3f1, v19
	v_or_b32_e32 v18, 0x1000, v12
	v_med3_i32 v20, v20, 0, 13
	v_lshrrev_b32_e32 v21, v20, v18
	v_lshlrev_b32_e32 v20, v20, v21
	v_cmp_ne_u32_e32 vcc, v20, v18
	v_add_u32_e32 v19, 0xfffffc10, v19
	v_lshl_or_b32 v20, v19, 12, v12
	v_cndmask_b32_e64 v18, 0, 1, vcc
	v_or_b32_e32 v18, v21, v18
	v_cmp_gt_i32_e32 vcc, 1, v19
	v_lshrrev_b32_e32 v13, 16, v13
	s_nop 0
	v_cndmask_b32_e32 v18, v20, v18, vcc
	v_and_b32_e32 v20, 7, v18
	v_cmp_lt_i32_e32 vcc, 5, v20
	v_cmp_eq_u32_e64 s[0:1], 3, v20
	v_lshrrev_b32_e32 v18, 2, v18
	s_or_b64 vcc, s[0:1], vcc
	v_addc_co_u32_e32 v18, vcc, 0, v18, vcc
	v_cmp_gt_i32_e32 vcc, 31, v19
	s_nop 1
	v_cndmask_b32_e32 v18, v1, v18, vcc
	v_cmp_ne_u32_e32 vcc, 0, v12
	s_nop 1
	v_cndmask_b32_e64 v12, 0, 1, vcc
	v_lshl_or_b32 v12, v12, 9, v1
	v_cmp_eq_u32_e32 vcc, s8, v19
	s_nop 1
	v_cndmask_b32_e32 v12, v18, v12, vcc
	v_and_or_b32 v12, v13, s9, v12
	v_bitop3_b32 v13, v17, s12, v16 bitop3:0xc8
	v_lshl_or_b32 v18, v12, 16, v13
	v_mad_u64_u32 v[12:13], s[0:1], s4, 20, v[2:3]
	v_mov_b32_e32 v16, v13
	v_mad_u64_u32 v[16:17], s[0:1], s5, 20, v[16:17]
	s_waitcnt lgkmcnt(0)
	v_lshrrev_b32_e32 v17, 16, v22
	v_mul_f16_sdwa v13, v14, v17 dst_sel:DWORD dst_unused:UNUSED_PAD src0_sel:WORD_1 src1_sel:DWORD
	v_fma_f16 v13, v14, v22, v13
	v_cvt_f32_f16_e32 v19, v13
	v_mov_b32_e32 v13, v16
	global_store_dword v[12:13], v18, off
	v_lshrrev_b32_e32 v18, 16, v23
	v_cvt_f64_f32_e32 v[12:13], v19
	v_mul_f64 v[12:13], v[12:13], s[2:3]
	v_and_or_b32 v12, v13, s6, v12
	v_cmp_ne_u32_e32 vcc, 0, v12
	v_lshrrev_b32_e32 v16, 8, v13
	v_bfe_u32 v19, v13, 20, 11
	v_cndmask_b32_e64 v12, 0, 1, vcc
	v_and_or_b32 v12, v16, s7, v12
	v_sub_u32_e32 v20, 0x3f1, v19
	v_or_b32_e32 v16, 0x1000, v12
	v_med3_i32 v20, v20, 0, 13
	v_lshrrev_b32_e32 v21, v20, v16
	v_lshlrev_b32_e32 v20, v20, v21
	v_cmp_ne_u32_e32 vcc, v20, v16
	v_add_u32_e32 v19, 0xfffffc10, v19
	v_lshl_or_b32 v20, v19, 12, v12
	v_cndmask_b32_e64 v16, 0, 1, vcc
	v_or_b32_e32 v16, v21, v16
	v_cmp_gt_i32_e32 vcc, 1, v19
	s_nop 1
	v_cndmask_b32_e32 v16, v20, v16, vcc
	v_and_b32_e32 v20, 7, v16
	v_cmp_lt_i32_e32 vcc, 5, v20
	v_cmp_eq_u32_e64 s[0:1], 3, v20
	v_lshrrev_b32_e32 v16, 2, v16
	s_or_b64 vcc, s[0:1], vcc
	v_mul_f16_sdwa v20, v14, v22 dst_sel:DWORD dst_unused:UNUSED_PAD src0_sel:WORD_1 src1_sel:DWORD
	v_addc_co_u32_e32 v16, vcc, 0, v16, vcc
	v_fma_f16 v14, v14, v17, -v20
	v_cmp_gt_i32_e32 vcc, 31, v19
	v_cvt_f32_f16_e32 v14, v14
	v_and_b32_sdwa v17, v13, s9 dst_sel:DWORD dst_unused:UNUSED_PAD src0_sel:WORD_1 src1_sel:DWORD
	v_cndmask_b32_e32 v16, v1, v16, vcc
	v_cmp_ne_u32_e32 vcc, 0, v12
	s_nop 1
	v_cndmask_b32_e64 v12, 0, 1, vcc
	v_lshl_or_b32 v12, v12, 9, v1
	v_cmp_eq_u32_e32 vcc, s8, v19
	s_nop 1
	v_cndmask_b32_e32 v16, v16, v12, vcc
	v_cvt_f64_f32_e32 v[12:13], v14
	v_mul_f64 v[12:13], v[12:13], s[2:3]
	v_and_or_b32 v12, v13, s6, v12
	v_cmp_ne_u32_e32 vcc, 0, v12
	v_lshrrev_b32_e32 v14, 8, v13
	v_bfe_u32 v19, v13, 20, 11
	v_cndmask_b32_e64 v12, 0, 1, vcc
	v_and_or_b32 v12, v14, s7, v12
	v_sub_u32_e32 v20, 0x3f1, v19
	v_or_b32_e32 v14, 0x1000, v12
	v_med3_i32 v20, v20, 0, 13
	v_lshrrev_b32_e32 v21, v20, v14
	v_lshlrev_b32_e32 v20, v20, v21
	v_cmp_ne_u32_e32 vcc, v20, v14
	v_add_u32_e32 v19, 0xfffffc10, v19
	v_lshl_or_b32 v20, v19, 12, v12
	v_cndmask_b32_e64 v14, 0, 1, vcc
	v_or_b32_e32 v14, v21, v14
	v_cmp_gt_i32_e32 vcc, 1, v19
	v_lshrrev_b32_e32 v13, 16, v13
	s_nop 0
	v_cndmask_b32_e32 v14, v20, v14, vcc
	v_and_b32_e32 v20, 7, v14
	v_cmp_lt_i32_e32 vcc, 5, v20
	v_cmp_eq_u32_e64 s[0:1], 3, v20
	v_lshrrev_b32_e32 v14, 2, v14
	s_or_b64 vcc, s[0:1], vcc
	v_addc_co_u32_e32 v14, vcc, 0, v14, vcc
	v_cmp_gt_i32_e32 vcc, 31, v19
	s_nop 1
	v_cndmask_b32_e32 v14, v1, v14, vcc
	v_cmp_ne_u32_e32 vcc, 0, v12
	s_nop 1
	v_cndmask_b32_e64 v12, 0, 1, vcc
	v_lshl_or_b32 v12, v12, 9, v1
	v_cmp_eq_u32_e32 vcc, s8, v19
	s_nop 1
	v_cndmask_b32_e32 v12, v14, v12, vcc
	v_and_or_b32 v12, v13, s9, v12
	v_bitop3_b32 v13, v17, s12, v16 bitop3:0xc8
	v_lshl_or_b32 v19, v12, 16, v13
	v_mad_u64_u32 v[12:13], s[0:1], s4, 24, v[2:3]
	v_mov_b32_e32 v14, v13
	v_mul_f16_e32 v13, v41, v18
	v_fma_f16 v13, v15, v23, v13
	v_cvt_f32_f16_e32 v20, v13
	v_mad_u64_u32 v[16:17], s[0:1], s5, 24, v[14:15]
	v_mov_b32_e32 v13, v16
	global_store_dword v[12:13], v19, off
	v_cvt_f64_f32_e32 v[12:13], v20
	v_mul_f64 v[12:13], v[12:13], s[2:3]
	v_and_or_b32 v12, v13, s6, v12
	v_cmp_ne_u32_e32 vcc, 0, v12
	v_lshrrev_b32_e32 v14, 8, v13
	v_bfe_u32 v16, v13, 20, 11
	v_cndmask_b32_e64 v12, 0, 1, vcc
	v_and_or_b32 v12, v14, s7, v12
	v_sub_u32_e32 v17, 0x3f1, v16
	v_or_b32_e32 v14, 0x1000, v12
	v_med3_i32 v17, v17, 0, 13
	v_lshrrev_b32_e32 v19, v17, v14
	v_lshlrev_b32_e32 v17, v17, v19
	v_cmp_ne_u32_e32 vcc, v17, v14
	v_add_u32_e32 v16, 0xfffffc10, v16
	v_lshl_or_b32 v17, v16, 12, v12
	v_cndmask_b32_e64 v14, 0, 1, vcc
	v_or_b32_e32 v14, v19, v14
	v_cmp_gt_i32_e32 vcc, 1, v16
	s_nop 1
	v_cndmask_b32_e32 v14, v17, v14, vcc
	v_and_b32_e32 v17, 7, v14
	v_cmp_lt_i32_e32 vcc, 5, v17
	v_cmp_eq_u32_e64 s[0:1], 3, v17
	v_lshrrev_b32_e32 v14, 2, v14
	s_or_b64 vcc, s[0:1], vcc
	v_mul_f16_e32 v17, v41, v23
	v_addc_co_u32_e32 v14, vcc, 0, v14, vcc
	v_fma_f16 v15, v15, v18, -v17
	v_cmp_gt_i32_e32 vcc, 31, v16
	v_cvt_f32_f16_e32 v15, v15
	s_nop 0
	v_cndmask_b32_e32 v14, v1, v14, vcc
	v_cmp_ne_u32_e32 vcc, 0, v12
	s_nop 1
	v_cndmask_b32_e64 v12, 0, 1, vcc
	v_lshl_or_b32 v12, v12, 9, v1
	v_cmp_eq_u32_e32 vcc, s8, v16
	v_and_b32_sdwa v16, v13, s9 dst_sel:DWORD dst_unused:UNUSED_PAD src0_sel:WORD_1 src1_sel:DWORD
	s_nop 0
	v_cndmask_b32_e32 v14, v14, v12, vcc
	v_cvt_f64_f32_e32 v[12:13], v15
	v_mul_f64 v[12:13], v[12:13], s[2:3]
	v_and_or_b32 v12, v13, s6, v12
	v_cmp_ne_u32_e32 vcc, 0, v12
	v_lshrrev_b32_e32 v15, 8, v13
	v_bfe_u32 v17, v13, 20, 11
	v_cndmask_b32_e64 v12, 0, 1, vcc
	v_and_or_b32 v12, v15, s7, v12
	v_sub_u32_e32 v18, 0x3f1, v17
	v_or_b32_e32 v15, 0x1000, v12
	v_med3_i32 v18, v18, 0, 13
	v_lshrrev_b32_e32 v19, v18, v15
	v_lshlrev_b32_e32 v18, v18, v19
	v_cmp_ne_u32_e32 vcc, v18, v15
	v_add_u32_e32 v17, 0xfffffc10, v17
	v_lshl_or_b32 v18, v17, 12, v12
	v_cndmask_b32_e64 v15, 0, 1, vcc
	v_or_b32_e32 v15, v19, v15
	v_cmp_gt_i32_e32 vcc, 1, v17
	v_lshrrev_b32_e32 v13, 16, v13
	s_nop 0
	v_cndmask_b32_e32 v15, v18, v15, vcc
	v_and_b32_e32 v18, 7, v15
	v_cmp_lt_i32_e32 vcc, 5, v18
	v_cmp_eq_u32_e64 s[0:1], 3, v18
	v_lshrrev_b32_e32 v15, 2, v15
	s_or_b64 vcc, s[0:1], vcc
	v_addc_co_u32_e32 v15, vcc, 0, v15, vcc
	v_cmp_gt_i32_e32 vcc, 31, v17
	v_mad_u64_u32 v[20:21], s[0:1], s4, 28, v[2:3]
	s_nop 0
	v_cndmask_b32_e32 v15, v1, v15, vcc
	v_cmp_ne_u32_e32 vcc, 0, v12
	s_nop 1
	v_cndmask_b32_e64 v12, 0, 1, vcc
	v_lshl_or_b32 v12, v12, 9, v1
	v_cmp_eq_u32_e32 vcc, s8, v17
	s_nop 1
	v_cndmask_b32_e32 v12, v15, v12, vcc
	v_and_or_b32 v12, v13, s9, v12
	v_bitop3_b32 v13, v16, s12, v14 bitop3:0xc8
	ds_read2_b32 v[14:15], v36 offset0:8 offset1:9
	v_lshl_or_b32 v24, v12, 16, v13
	v_mov_b32_e32 v12, v21
	v_mad_u64_u32 v[22:23], s[0:1], s5, 28, v[12:13]
	s_waitcnt lgkmcnt(0)
	v_lshrrev_b32_e32 v23, 16, v14
	v_mul_f16_sdwa v21, v8, v23 dst_sel:DWORD dst_unused:UNUSED_PAD src0_sel:WORD_1 src1_sel:DWORD
	v_fma_f16 v21, v8, v14, v21
	v_cvt_f32_f16_e32 v25, v21
	v_mov_b32_e32 v21, v22
	ds_read2_b32 v[16:17], v36 offset0:10 offset1:11
	ds_read2_b32 v[18:19], v36 offset0:12 offset1:13
	;; [unrolled: 1-line block ×3, first 2 shown]
	global_store_dword v[20:21], v24, off
	v_cvt_f64_f32_e32 v[20:21], v25
	v_mul_f64 v[20:21], v[20:21], s[2:3]
	v_and_or_b32 v20, v21, s6, v20
	v_cmp_ne_u32_e32 vcc, 0, v20
	v_lshrrev_b32_e32 v24, 8, v21
	v_bfe_u32 v25, v21, 20, 11
	v_cndmask_b32_e64 v20, 0, 1, vcc
	v_and_or_b32 v20, v24, s7, v20
	v_sub_u32_e32 v26, 0x3f1, v25
	v_or_b32_e32 v24, 0x1000, v20
	v_med3_i32 v26, v26, 0, 13
	v_lshrrev_b32_e32 v27, v26, v24
	v_lshlrev_b32_e32 v26, v26, v27
	v_cmp_ne_u32_e32 vcc, v26, v24
	v_add_u32_e32 v25, 0xfffffc10, v25
	v_lshl_or_b32 v26, v25, 12, v20
	v_cndmask_b32_e64 v24, 0, 1, vcc
	v_or_b32_e32 v24, v27, v24
	v_cmp_gt_i32_e32 vcc, 1, v25
	v_mul_f16_sdwa v14, v8, v14 dst_sel:DWORD dst_unused:UNUSED_PAD src0_sel:WORD_1 src1_sel:DWORD
	v_fma_f16 v8, v8, v23, -v14
	v_cndmask_b32_e32 v24, v26, v24, vcc
	v_and_b32_e32 v26, 7, v24
	v_cmp_lt_i32_e32 vcc, 5, v26
	v_cmp_eq_u32_e64 s[0:1], 3, v26
	v_lshrrev_b32_e32 v24, 2, v24
	s_or_b64 vcc, s[0:1], vcc
	v_addc_co_u32_e32 v24, vcc, 0, v24, vcc
	v_cmp_gt_i32_e32 vcc, 31, v25
	v_cvt_f32_f16_e32 v8, v8
	v_and_b32_sdwa v23, v21, s9 dst_sel:DWORD dst_unused:UNUSED_PAD src0_sel:WORD_1 src1_sel:DWORD
	v_cndmask_b32_e32 v24, v1, v24, vcc
	v_cmp_ne_u32_e32 vcc, 0, v20
	v_lshrrev_b32_e32 v22, 16, v15
	s_nop 0
	v_cndmask_b32_e64 v20, 0, 1, vcc
	v_lshl_or_b32 v20, v20, 9, v1
	v_cmp_eq_u32_e32 vcc, s8, v25
	s_nop 1
	v_cndmask_b32_e32 v14, v24, v20, vcc
	v_cvt_f64_f32_e32 v[20:21], v8
	v_mul_f64 v[20:21], v[20:21], s[2:3]
	v_and_or_b32 v8, v21, s6, v20
	v_cmp_ne_u32_e32 vcc, 0, v8
	v_lshrrev_b32_e32 v20, 8, v21
	v_bfe_u32 v24, v21, 20, 11
	v_cndmask_b32_e64 v8, 0, 1, vcc
	v_and_or_b32 v8, v20, s7, v8
	v_sub_u32_e32 v25, 0x3f1, v24
	v_or_b32_e32 v20, 0x1000, v8
	v_med3_i32 v25, v25, 0, 13
	v_lshrrev_b32_e32 v26, v25, v20
	v_lshlrev_b32_e32 v25, v25, v26
	v_cmp_ne_u32_e32 vcc, v25, v20
	v_add_u32_e32 v24, 0xfffffc10, v24
	v_lshl_or_b32 v25, v24, 12, v8
	v_cndmask_b32_e64 v20, 0, 1, vcc
	v_or_b32_e32 v20, v26, v20
	v_cmp_gt_i32_e32 vcc, 1, v24
	v_bitop3_b32 v14, v23, s12, v14 bitop3:0xc8
	s_nop 0
	v_cndmask_b32_e32 v20, v25, v20, vcc
	v_and_b32_e32 v25, 7, v20
	v_cmp_lt_i32_e32 vcc, 5, v25
	v_cmp_eq_u32_e64 s[0:1], 3, v25
	v_lshrrev_b32_e32 v20, 2, v20
	s_or_b64 vcc, s[0:1], vcc
	v_addc_co_u32_e32 v20, vcc, 0, v20, vcc
	v_cmp_gt_i32_e32 vcc, 31, v24
	s_lshl_b64 s[0:1], s[4:5], 5
	s_nop 0
	v_cndmask_b32_e32 v20, v1, v20, vcc
	v_cmp_ne_u32_e32 vcc, 0, v8
	s_nop 1
	v_cndmask_b32_e64 v8, 0, 1, vcc
	v_lshl_or_b32 v8, v8, 9, v1
	v_cmp_eq_u32_e32 vcc, s8, v24
	s_nop 1
	v_cndmask_b32_e32 v8, v20, v8, vcc
	v_lshrrev_b32_e32 v20, 16, v21
	v_and_or_b32 v8, v20, s9, v8
	v_lshl_or_b32 v8, v8, 16, v14
	v_mul_f16_e32 v14, v40, v22
	v_fma_f16 v14, v9, v15, v14
	v_cvt_f32_f16_e32 v14, v14
	v_lshl_add_u64 v[20:21], v[2:3], 0, s[0:1]
	global_store_dword v[20:21], v8, off
	v_mul_f16_e32 v15, v40, v15
	v_cvt_f64_f32_e32 v[20:21], v14
	v_mul_f64 v[20:21], v[20:21], s[2:3]
	v_and_or_b32 v8, v21, s6, v20
	v_cmp_ne_u32_e32 vcc, 0, v8
	v_lshrrev_b32_e32 v14, 8, v21
	v_bfe_u32 v20, v21, 20, 11
	v_cndmask_b32_e64 v8, 0, 1, vcc
	v_and_or_b32 v8, v14, s7, v8
	v_sub_u32_e32 v23, 0x3f1, v20
	v_or_b32_e32 v14, 0x1000, v8
	v_med3_i32 v23, v23, 0, 13
	v_lshrrev_b32_e32 v24, v23, v14
	v_lshlrev_b32_e32 v23, v23, v24
	v_cmp_ne_u32_e32 vcc, v23, v14
	v_add_u32_e32 v20, 0xfffffc10, v20
	v_lshl_or_b32 v23, v20, 12, v8
	v_cndmask_b32_e64 v14, 0, 1, vcc
	v_or_b32_e32 v14, v24, v14
	v_cmp_gt_i32_e32 vcc, 1, v20
	v_fma_f16 v9, v9, v22, -v15
	v_cvt_f32_f16_e32 v9, v9
	v_cndmask_b32_e32 v14, v23, v14, vcc
	v_and_b32_e32 v23, 7, v14
	v_cmp_lt_i32_e32 vcc, 5, v23
	v_cmp_eq_u32_e64 s[0:1], 3, v23
	v_lshrrev_b32_e32 v14, 2, v14
	s_or_b64 vcc, s[0:1], vcc
	v_addc_co_u32_e32 v14, vcc, 0, v14, vcc
	v_cmp_gt_i32_e32 vcc, 31, v20
	v_and_b32_sdwa v15, v21, s9 dst_sel:DWORD dst_unused:UNUSED_PAD src0_sel:WORD_1 src1_sel:DWORD
	s_nop 0
	v_cndmask_b32_e32 v14, v1, v14, vcc
	v_cmp_ne_u32_e32 vcc, 0, v8
	s_nop 1
	v_cndmask_b32_e64 v8, 0, 1, vcc
	v_lshl_or_b32 v8, v8, 9, v1
	v_cmp_eq_u32_e32 vcc, s8, v20
	s_nop 1
	v_cndmask_b32_e32 v14, v14, v8, vcc
	v_cvt_f64_f32_e32 v[8:9], v9
	v_mul_f64 v[8:9], v[8:9], s[2:3]
	v_and_or_b32 v8, v9, s6, v8
	v_cmp_ne_u32_e32 vcc, 0, v8
	v_lshrrev_b32_e32 v20, 8, v9
	v_bfe_u32 v21, v9, 20, 11
	v_cndmask_b32_e64 v8, 0, 1, vcc
	v_and_or_b32 v8, v20, s7, v8
	v_sub_u32_e32 v22, 0x3f1, v21
	v_or_b32_e32 v20, 0x1000, v8
	v_med3_i32 v22, v22, 0, 13
	v_lshrrev_b32_e32 v23, v22, v20
	v_lshlrev_b32_e32 v22, v22, v23
	v_cmp_ne_u32_e32 vcc, v22, v20
	v_add_u32_e32 v21, 0xfffffc10, v21
	v_lshl_or_b32 v22, v21, 12, v8
	v_cndmask_b32_e64 v20, 0, 1, vcc
	v_or_b32_e32 v20, v23, v20
	v_cmp_gt_i32_e32 vcc, 1, v21
	v_lshrrev_b32_e32 v9, 16, v9
	s_nop 0
	v_cndmask_b32_e32 v20, v22, v20, vcc
	v_and_b32_e32 v22, 7, v20
	v_cmp_lt_i32_e32 vcc, 5, v22
	v_cmp_eq_u32_e64 s[0:1], 3, v22
	v_lshrrev_b32_e32 v20, 2, v20
	s_or_b64 vcc, s[0:1], vcc
	v_addc_co_u32_e32 v20, vcc, 0, v20, vcc
	v_cmp_gt_i32_e32 vcc, 31, v21
	s_nop 1
	v_cndmask_b32_e32 v20, v1, v20, vcc
	v_cmp_ne_u32_e32 vcc, 0, v8
	s_nop 1
	v_cndmask_b32_e64 v8, 0, 1, vcc
	v_lshl_or_b32 v8, v8, 9, v1
	v_cmp_eq_u32_e32 vcc, s8, v21
	s_nop 1
	v_cndmask_b32_e32 v8, v20, v8, vcc
	v_and_or_b32 v8, v9, s9, v8
	v_bitop3_b32 v9, v15, s12, v14 bitop3:0xc8
	v_lshl_or_b32 v20, v8, 16, v9
	v_mad_u64_u32 v[8:9], s[0:1], s4, 36, v[2:3]
	v_mov_b32_e32 v14, v9
	v_mad_u64_u32 v[14:15], s[0:1], s5, 36, v[14:15]
	s_waitcnt lgkmcnt(2)
	v_lshrrev_b32_e32 v15, 16, v16
	v_mul_f16_sdwa v9, v10, v15 dst_sel:DWORD dst_unused:UNUSED_PAD src0_sel:WORD_1 src1_sel:DWORD
	v_fma_f16 v9, v10, v16, v9
	v_cvt_f32_f16_e32 v21, v9
	v_mov_b32_e32 v9, v14
	global_store_dword v[8:9], v20, off
	v_mul_f16_sdwa v16, v10, v16 dst_sel:DWORD dst_unused:UNUSED_PAD src0_sel:WORD_1 src1_sel:DWORD
	v_cvt_f64_f32_e32 v[8:9], v21
	v_mul_f64 v[8:9], v[8:9], s[2:3]
	v_and_or_b32 v8, v9, s6, v8
	v_cmp_ne_u32_e32 vcc, 0, v8
	v_lshrrev_b32_e32 v14, 8, v9
	v_bfe_u32 v21, v9, 20, 11
	v_cndmask_b32_e64 v8, 0, 1, vcc
	v_and_or_b32 v8, v14, s7, v8
	v_sub_u32_e32 v22, 0x3f1, v21
	v_or_b32_e32 v14, 0x1000, v8
	v_med3_i32 v22, v22, 0, 13
	v_lshrrev_b32_e32 v23, v22, v14
	v_lshlrev_b32_e32 v22, v22, v23
	v_cmp_ne_u32_e32 vcc, v22, v14
	v_add_u32_e32 v21, 0xfffffc10, v21
	v_lshl_or_b32 v22, v21, 12, v8
	v_cndmask_b32_e64 v14, 0, 1, vcc
	v_or_b32_e32 v14, v23, v14
	v_cmp_gt_i32_e32 vcc, 1, v21
	v_fma_f16 v10, v10, v15, -v16
	v_cvt_f32_f16_e32 v10, v10
	v_cndmask_b32_e32 v14, v22, v14, vcc
	v_and_b32_e32 v22, 7, v14
	v_cmp_lt_i32_e32 vcc, 5, v22
	v_cmp_eq_u32_e64 s[0:1], 3, v22
	v_lshrrev_b32_e32 v14, 2, v14
	s_or_b64 vcc, s[0:1], vcc
	v_addc_co_u32_e32 v14, vcc, 0, v14, vcc
	v_cmp_gt_i32_e32 vcc, 31, v21
	v_and_b32_sdwa v15, v9, s9 dst_sel:DWORD dst_unused:UNUSED_PAD src0_sel:WORD_1 src1_sel:DWORD
	v_lshrrev_b32_e32 v20, 16, v17
	v_cndmask_b32_e32 v14, v1, v14, vcc
	v_cmp_ne_u32_e32 vcc, 0, v8
	s_nop 1
	v_cndmask_b32_e64 v8, 0, 1, vcc
	v_lshl_or_b32 v8, v8, 9, v1
	v_cmp_eq_u32_e32 vcc, s8, v21
	s_nop 1
	v_cndmask_b32_e32 v14, v14, v8, vcc
	v_cvt_f64_f32_e32 v[8:9], v10
	v_mul_f64 v[8:9], v[8:9], s[2:3]
	v_and_or_b32 v8, v9, s6, v8
	v_cmp_ne_u32_e32 vcc, 0, v8
	v_lshrrev_b32_e32 v10, 8, v9
	v_bfe_u32 v16, v9, 20, 11
	v_cndmask_b32_e64 v8, 0, 1, vcc
	v_and_or_b32 v8, v10, s7, v8
	v_sub_u32_e32 v21, 0x3f1, v16
	v_or_b32_e32 v10, 0x1000, v8
	v_med3_i32 v21, v21, 0, 13
	v_lshrrev_b32_e32 v22, v21, v10
	v_lshlrev_b32_e32 v21, v21, v22
	v_cmp_ne_u32_e32 vcc, v21, v10
	v_add_u32_e32 v16, 0xfffffc10, v16
	v_lshl_or_b32 v21, v16, 12, v8
	v_cndmask_b32_e64 v10, 0, 1, vcc
	v_or_b32_e32 v10, v22, v10
	v_cmp_gt_i32_e32 vcc, 1, v16
	v_lshrrev_b32_e32 v9, 16, v9
	s_nop 0
	v_cndmask_b32_e32 v10, v21, v10, vcc
	v_and_b32_e32 v21, 7, v10
	v_cmp_lt_i32_e32 vcc, 5, v21
	v_cmp_eq_u32_e64 s[0:1], 3, v21
	v_lshrrev_b32_e32 v10, 2, v10
	s_or_b64 vcc, s[0:1], vcc
	v_addc_co_u32_e32 v10, vcc, 0, v10, vcc
	v_cmp_gt_i32_e32 vcc, 31, v16
	s_nop 1
	v_cndmask_b32_e32 v10, v1, v10, vcc
	v_cmp_ne_u32_e32 vcc, 0, v8
	s_nop 1
	v_cndmask_b32_e64 v8, 0, 1, vcc
	v_lshl_or_b32 v8, v8, 9, v1
	v_cmp_eq_u32_e32 vcc, s8, v16
	s_nop 1
	v_cndmask_b32_e32 v8, v10, v8, vcc
	v_and_or_b32 v8, v9, s9, v8
	v_bitop3_b32 v9, v15, s12, v14 bitop3:0xc8
	v_lshl_or_b32 v16, v8, 16, v9
	v_mad_u64_u32 v[8:9], s[0:1], s4, 40, v[2:3]
	v_mov_b32_e32 v10, v9
	v_mul_f16_e32 v9, v39, v20
	v_fma_f16 v9, v11, v17, v9
	v_cvt_f32_f16_e32 v21, v9
	v_mad_u64_u32 v[14:15], s[0:1], s5, 40, v[10:11]
	v_mov_b32_e32 v9, v14
	global_store_dword v[8:9], v16, off
	v_cvt_f64_f32_e32 v[8:9], v21
	v_mul_f64 v[8:9], v[8:9], s[2:3]
	v_and_or_b32 v8, v9, s6, v8
	v_cmp_ne_u32_e32 vcc, 0, v8
	v_lshrrev_b32_e32 v10, 8, v9
	v_bfe_u32 v14, v9, 20, 11
	v_cndmask_b32_e64 v8, 0, 1, vcc
	v_and_or_b32 v8, v10, s7, v8
	v_sub_u32_e32 v15, 0x3f1, v14
	v_or_b32_e32 v10, 0x1000, v8
	v_med3_i32 v15, v15, 0, 13
	v_lshrrev_b32_e32 v16, v15, v10
	v_lshlrev_b32_e32 v15, v15, v16
	v_cmp_ne_u32_e32 vcc, v15, v10
	v_add_u32_e32 v14, 0xfffffc10, v14
	v_lshl_or_b32 v15, v14, 12, v8
	v_cndmask_b32_e64 v10, 0, 1, vcc
	v_or_b32_e32 v10, v16, v10
	v_cmp_gt_i32_e32 vcc, 1, v14
	s_nop 1
	v_cndmask_b32_e32 v10, v15, v10, vcc
	v_and_b32_e32 v15, 7, v10
	v_cmp_lt_i32_e32 vcc, 5, v15
	v_cmp_eq_u32_e64 s[0:1], 3, v15
	v_lshrrev_b32_e32 v10, 2, v10
	s_or_b64 vcc, s[0:1], vcc
	v_mul_f16_e32 v15, v39, v17
	v_addc_co_u32_e32 v10, vcc, 0, v10, vcc
	v_fma_f16 v11, v11, v20, -v15
	v_cmp_gt_i32_e32 vcc, 31, v14
	v_cvt_f32_f16_e32 v11, v11
	s_nop 0
	v_cndmask_b32_e32 v10, v1, v10, vcc
	v_cmp_ne_u32_e32 vcc, 0, v8
	s_nop 1
	v_cndmask_b32_e64 v8, 0, 1, vcc
	v_lshl_or_b32 v8, v8, 9, v1
	v_cmp_eq_u32_e32 vcc, s8, v14
	v_and_b32_sdwa v14, v9, s9 dst_sel:DWORD dst_unused:UNUSED_PAD src0_sel:WORD_1 src1_sel:DWORD
	s_nop 0
	v_cndmask_b32_e32 v10, v10, v8, vcc
	v_cvt_f64_f32_e32 v[8:9], v11
	v_mul_f64 v[8:9], v[8:9], s[2:3]
	v_and_or_b32 v8, v9, s6, v8
	v_cmp_ne_u32_e32 vcc, 0, v8
	v_lshrrev_b32_e32 v11, 8, v9
	v_bfe_u32 v15, v9, 20, 11
	v_cndmask_b32_e64 v8, 0, 1, vcc
	v_and_or_b32 v8, v11, s7, v8
	v_sub_u32_e32 v16, 0x3f1, v15
	v_or_b32_e32 v11, 0x1000, v8
	v_med3_i32 v16, v16, 0, 13
	v_lshrrev_b32_e32 v17, v16, v11
	v_lshlrev_b32_e32 v16, v16, v17
	v_cmp_ne_u32_e32 vcc, v16, v11
	v_add_u32_e32 v15, 0xfffffc10, v15
	v_lshl_or_b32 v16, v15, 12, v8
	v_cndmask_b32_e64 v11, 0, 1, vcc
	v_or_b32_e32 v11, v17, v11
	v_cmp_gt_i32_e32 vcc, 1, v15
	v_lshrrev_b32_e32 v9, 16, v9
	s_nop 0
	v_cndmask_b32_e32 v11, v16, v11, vcc
	v_and_b32_e32 v16, 7, v11
	v_cmp_lt_i32_e32 vcc, 5, v16
	v_cmp_eq_u32_e64 s[0:1], 3, v16
	v_lshrrev_b32_e32 v11, 2, v11
	s_or_b64 vcc, s[0:1], vcc
	v_addc_co_u32_e32 v11, vcc, 0, v11, vcc
	v_cmp_gt_i32_e32 vcc, 31, v15
	s_nop 1
	v_cndmask_b32_e32 v11, v1, v11, vcc
	v_cmp_ne_u32_e32 vcc, 0, v8
	s_nop 1
	v_cndmask_b32_e64 v8, 0, 1, vcc
	v_lshl_or_b32 v8, v8, 9, v1
	v_cmp_eq_u32_e32 vcc, s8, v15
	s_nop 1
	v_cndmask_b32_e32 v8, v11, v8, vcc
	v_and_or_b32 v8, v9, s9, v8
	v_bitop3_b32 v9, v14, s12, v10 bitop3:0xc8
	v_lshl_or_b32 v14, v8, 16, v9
	v_mad_u64_u32 v[8:9], s[0:1], s4, 44, v[2:3]
	v_mov_b32_e32 v10, v9
	v_mad_u64_u32 v[10:11], s[0:1], s5, 44, v[10:11]
	s_waitcnt lgkmcnt(1)
	v_lshrrev_b32_e32 v11, 16, v18
	v_mul_f16_sdwa v9, v4, v11 dst_sel:DWORD dst_unused:UNUSED_PAD src0_sel:WORD_1 src1_sel:DWORD
	v_fma_f16 v9, v4, v18, v9
	v_cvt_f32_f16_e32 v15, v9
	v_mov_b32_e32 v9, v10
	global_store_dword v[8:9], v14, off
	v_lshrrev_b32_e32 v14, 16, v19
	v_cvt_f64_f32_e32 v[8:9], v15
	v_mul_f64 v[8:9], v[8:9], s[2:3]
	v_and_or_b32 v8, v9, s6, v8
	v_cmp_ne_u32_e32 vcc, 0, v8
	v_lshrrev_b32_e32 v10, 8, v9
	v_bfe_u32 v15, v9, 20, 11
	v_cndmask_b32_e64 v8, 0, 1, vcc
	v_and_or_b32 v8, v10, s7, v8
	v_sub_u32_e32 v16, 0x3f1, v15
	v_or_b32_e32 v10, 0x1000, v8
	v_med3_i32 v16, v16, 0, 13
	v_lshrrev_b32_e32 v17, v16, v10
	v_lshlrev_b32_e32 v16, v16, v17
	v_cmp_ne_u32_e32 vcc, v16, v10
	v_add_u32_e32 v15, 0xfffffc10, v15
	v_lshl_or_b32 v16, v15, 12, v8
	v_cndmask_b32_e64 v10, 0, 1, vcc
	v_or_b32_e32 v10, v17, v10
	v_cmp_gt_i32_e32 vcc, 1, v15
	s_nop 1
	v_cndmask_b32_e32 v10, v16, v10, vcc
	v_and_b32_e32 v16, 7, v10
	v_cmp_lt_i32_e32 vcc, 5, v16
	v_cmp_eq_u32_e64 s[0:1], 3, v16
	v_lshrrev_b32_e32 v10, 2, v10
	s_or_b64 vcc, s[0:1], vcc
	v_mul_f16_sdwa v16, v4, v18 dst_sel:DWORD dst_unused:UNUSED_PAD src0_sel:WORD_1 src1_sel:DWORD
	v_addc_co_u32_e32 v10, vcc, 0, v10, vcc
	v_fma_f16 v4, v4, v11, -v16
	v_cmp_gt_i32_e32 vcc, 31, v15
	v_cvt_f32_f16_e32 v4, v4
	v_and_b32_sdwa v11, v9, s9 dst_sel:DWORD dst_unused:UNUSED_PAD src0_sel:WORD_1 src1_sel:DWORD
	v_cndmask_b32_e32 v10, v1, v10, vcc
	v_cmp_ne_u32_e32 vcc, 0, v8
	s_nop 1
	v_cndmask_b32_e64 v8, 0, 1, vcc
	v_lshl_or_b32 v8, v8, 9, v1
	v_cmp_eq_u32_e32 vcc, s8, v15
	s_nop 1
	v_cndmask_b32_e32 v10, v10, v8, vcc
	v_cvt_f64_f32_e32 v[8:9], v4
	v_mul_f64 v[8:9], v[8:9], s[2:3]
	v_and_or_b32 v4, v9, s6, v8
	v_cmp_ne_u32_e32 vcc, 0, v4
	v_lshrrev_b32_e32 v8, 8, v9
	v_bfe_u32 v15, v9, 20, 11
	v_cndmask_b32_e64 v4, 0, 1, vcc
	v_and_or_b32 v4, v8, s7, v4
	v_sub_u32_e32 v16, 0x3f1, v15
	v_or_b32_e32 v8, 0x1000, v4
	v_med3_i32 v16, v16, 0, 13
	v_lshrrev_b32_e32 v17, v16, v8
	v_lshlrev_b32_e32 v16, v16, v17
	v_cmp_ne_u32_e32 vcc, v16, v8
	v_add_u32_e32 v15, 0xfffffc10, v15
	v_lshl_or_b32 v16, v15, 12, v4
	v_cndmask_b32_e64 v8, 0, 1, vcc
	v_or_b32_e32 v8, v17, v8
	v_cmp_gt_i32_e32 vcc, 1, v15
	s_nop 1
	v_cndmask_b32_e32 v8, v16, v8, vcc
	v_and_b32_e32 v16, 7, v8
	v_cmp_lt_i32_e32 vcc, 5, v16
	v_cmp_eq_u32_e64 s[0:1], 3, v16
	v_lshrrev_b32_e32 v8, 2, v8
	s_or_b64 vcc, s[0:1], vcc
	v_addc_co_u32_e32 v8, vcc, 0, v8, vcc
	v_cmp_gt_i32_e32 vcc, 31, v15
	s_nop 1
	v_cndmask_b32_e32 v8, v1, v8, vcc
	v_cmp_ne_u32_e32 vcc, 0, v4
	s_nop 1
	v_cndmask_b32_e64 v4, 0, 1, vcc
	v_lshl_or_b32 v4, v4, 9, v1
	v_cmp_eq_u32_e32 vcc, s8, v15
	s_nop 1
	v_cndmask_b32_e32 v4, v8, v4, vcc
	v_lshrrev_b32_e32 v8, 16, v9
	v_and_or_b32 v4, v8, s9, v4
	v_bitop3_b32 v8, v11, s12, v10 bitop3:0xc8
	v_lshl_or_b32 v15, v4, 16, v8
	v_mad_u64_u32 v[8:9], s[0:1], s4, 48, v[2:3]
	v_mov_b32_e32 v4, v9
	v_mul_f16_e32 v9, v38, v14
	v_fma_f16 v9, v5, v19, v9
	v_cvt_f32_f16_e32 v16, v9
	v_mad_u64_u32 v[10:11], s[0:1], s5, 48, v[4:5]
	v_mov_b32_e32 v9, v10
	global_store_dword v[8:9], v15, off
	v_cvt_f64_f32_e32 v[8:9], v16
	v_mul_f64 v[8:9], v[8:9], s[2:3]
	v_and_or_b32 v4, v9, s6, v8
	v_cmp_ne_u32_e32 vcc, 0, v4
	v_lshrrev_b32_e32 v8, 8, v9
	v_bfe_u32 v10, v9, 20, 11
	v_cndmask_b32_e64 v4, 0, 1, vcc
	v_and_or_b32 v4, v8, s7, v4
	v_sub_u32_e32 v11, 0x3f1, v10
	v_or_b32_e32 v8, 0x1000, v4
	v_med3_i32 v11, v11, 0, 13
	v_lshrrev_b32_e32 v15, v11, v8
	v_lshlrev_b32_e32 v11, v11, v15
	v_cmp_ne_u32_e32 vcc, v11, v8
	v_add_u32_e32 v10, 0xfffffc10, v10
	v_lshl_or_b32 v11, v10, 12, v4
	v_cndmask_b32_e64 v8, 0, 1, vcc
	v_or_b32_e32 v8, v15, v8
	v_cmp_gt_i32_e32 vcc, 1, v10
	v_and_b32_sdwa v9, v9, s9 dst_sel:DWORD dst_unused:UNUSED_PAD src0_sel:WORD_1 src1_sel:DWORD
	s_nop 0
	v_cndmask_b32_e32 v8, v11, v8, vcc
	v_and_b32_e32 v11, 7, v8
	v_cmp_lt_i32_e32 vcc, 5, v11
	v_cmp_eq_u32_e64 s[0:1], 3, v11
	v_lshrrev_b32_e32 v8, 2, v8
	s_or_b64 vcc, s[0:1], vcc
	v_mul_f16_e32 v11, v38, v19
	v_addc_co_u32_e32 v8, vcc, 0, v8, vcc
	v_fma_f16 v5, v5, v14, -v11
	v_cmp_gt_i32_e32 vcc, 31, v10
	v_cvt_f32_f16_e32 v5, v5
	s_nop 0
	v_cndmask_b32_e32 v8, v1, v8, vcc
	v_cmp_ne_u32_e32 vcc, 0, v4
	s_nop 1
	v_cndmask_b32_e64 v4, 0, 1, vcc
	v_lshl_or_b32 v4, v4, 9, v1
	v_cmp_eq_u32_e32 vcc, s8, v10
	s_nop 1
	v_cndmask_b32_e32 v8, v8, v4, vcc
	v_cvt_f64_f32_e32 v[4:5], v5
	v_mul_f64 v[4:5], v[4:5], s[2:3]
	v_and_or_b32 v4, v5, s6, v4
	v_cmp_ne_u32_e32 vcc, 0, v4
	v_lshrrev_b32_e32 v10, 8, v5
	v_bfe_u32 v11, v5, 20, 11
	v_cndmask_b32_e64 v4, 0, 1, vcc
	v_and_or_b32 v4, v10, s7, v4
	v_sub_u32_e32 v14, 0x3f1, v11
	v_or_b32_e32 v10, 0x1000, v4
	v_med3_i32 v14, v14, 0, 13
	v_lshrrev_b32_e32 v15, v14, v10
	v_lshlrev_b32_e32 v14, v14, v15
	v_cmp_ne_u32_e32 vcc, v14, v10
	v_add_u32_e32 v11, 0xfffffc10, v11
	v_lshl_or_b32 v14, v11, 12, v4
	v_cndmask_b32_e64 v10, 0, 1, vcc
	v_or_b32_e32 v10, v15, v10
	v_cmp_gt_i32_e32 vcc, 1, v11
	v_lshrrev_b32_e32 v5, 16, v5
	s_nop 0
	v_cndmask_b32_e32 v10, v14, v10, vcc
	v_and_b32_e32 v14, 7, v10
	v_cmp_lt_i32_e32 vcc, 5, v14
	v_cmp_eq_u32_e64 s[0:1], 3, v14
	v_lshrrev_b32_e32 v10, 2, v10
	s_or_b64 vcc, s[0:1], vcc
	v_addc_co_u32_e32 v10, vcc, 0, v10, vcc
	v_cmp_gt_i32_e32 vcc, 31, v11
	s_nop 1
	v_cndmask_b32_e32 v10, v1, v10, vcc
	v_cmp_ne_u32_e32 vcc, 0, v4
	s_nop 1
	v_cndmask_b32_e64 v4, 0, 1, vcc
	v_lshl_or_b32 v4, v4, 9, v1
	v_cmp_eq_u32_e32 vcc, s8, v11
	s_nop 1
	v_cndmask_b32_e32 v4, v10, v4, vcc
	v_and_or_b32 v4, v5, s9, v4
	v_bitop3_b32 v5, v9, s12, v8 bitop3:0xc8
	v_lshl_or_b32 v10, v4, 16, v5
	v_mad_u64_u32 v[4:5], s[0:1], s4, 52, v[2:3]
	v_mov_b32_e32 v8, v5
	v_mad_u64_u32 v[8:9], s[0:1], s5, 52, v[8:9]
	s_waitcnt lgkmcnt(0)
	v_lshrrev_b32_e32 v9, 16, v12
	v_mul_f16_sdwa v5, v6, v9 dst_sel:DWORD dst_unused:UNUSED_PAD src0_sel:WORD_1 src1_sel:DWORD
	v_fma_f16 v5, v6, v12, v5
	v_cvt_f32_f16_e32 v11, v5
	v_mov_b32_e32 v5, v8
	global_store_dword v[4:5], v10, off
	v_mul_f16_sdwa v12, v6, v12 dst_sel:DWORD dst_unused:UNUSED_PAD src0_sel:WORD_1 src1_sel:DWORD
	v_cvt_f64_f32_e32 v[4:5], v11
	v_mul_f64 v[4:5], v[4:5], s[2:3]
	v_and_or_b32 v4, v5, s6, v4
	v_cmp_ne_u32_e32 vcc, 0, v4
	v_lshrrev_b32_e32 v8, 8, v5
	v_bfe_u32 v11, v5, 20, 11
	v_cndmask_b32_e64 v4, 0, 1, vcc
	v_and_or_b32 v4, v8, s7, v4
	v_sub_u32_e32 v14, 0x3f1, v11
	v_or_b32_e32 v8, 0x1000, v4
	v_med3_i32 v14, v14, 0, 13
	v_lshrrev_b32_e32 v15, v14, v8
	v_lshlrev_b32_e32 v14, v14, v15
	v_cmp_ne_u32_e32 vcc, v14, v8
	v_add_u32_e32 v11, 0xfffffc10, v11
	v_lshl_or_b32 v14, v11, 12, v4
	v_cndmask_b32_e64 v8, 0, 1, vcc
	v_or_b32_e32 v8, v15, v8
	v_cmp_gt_i32_e32 vcc, 1, v11
	v_fma_f16 v6, v6, v9, -v12
	v_cvt_f32_f16_e32 v6, v6
	v_cndmask_b32_e32 v8, v14, v8, vcc
	v_and_b32_e32 v14, 7, v8
	v_cmp_lt_i32_e32 vcc, 5, v14
	v_cmp_eq_u32_e64 s[0:1], 3, v14
	v_lshrrev_b32_e32 v8, 2, v8
	s_or_b64 vcc, s[0:1], vcc
	v_addc_co_u32_e32 v8, vcc, 0, v8, vcc
	v_cmp_gt_i32_e32 vcc, 31, v11
	v_and_b32_sdwa v9, v5, s9 dst_sel:DWORD dst_unused:UNUSED_PAD src0_sel:WORD_1 src1_sel:DWORD
	v_lshrrev_b32_e32 v10, 16, v13
	v_cndmask_b32_e32 v8, v1, v8, vcc
	v_cmp_ne_u32_e32 vcc, 0, v4
	s_nop 1
	v_cndmask_b32_e64 v4, 0, 1, vcc
	v_lshl_or_b32 v4, v4, 9, v1
	v_cmp_eq_u32_e32 vcc, s8, v11
	s_nop 1
	v_cndmask_b32_e32 v8, v8, v4, vcc
	v_cvt_f64_f32_e32 v[4:5], v6
	v_mul_f64 v[4:5], v[4:5], s[2:3]
	v_and_or_b32 v4, v5, s6, v4
	v_cmp_ne_u32_e32 vcc, 0, v4
	v_lshrrev_b32_e32 v6, 8, v5
	v_bfe_u32 v11, v5, 20, 11
	v_cndmask_b32_e64 v4, 0, 1, vcc
	v_and_or_b32 v4, v6, s7, v4
	v_sub_u32_e32 v12, 0x3f1, v11
	v_or_b32_e32 v6, 0x1000, v4
	v_med3_i32 v12, v12, 0, 13
	v_lshrrev_b32_e32 v14, v12, v6
	v_lshlrev_b32_e32 v12, v12, v14
	v_cmp_ne_u32_e32 vcc, v12, v6
	v_add_u32_e32 v11, 0xfffffc10, v11
	v_lshl_or_b32 v12, v11, 12, v4
	v_cndmask_b32_e64 v6, 0, 1, vcc
	v_or_b32_e32 v6, v14, v6
	v_cmp_gt_i32_e32 vcc, 1, v11
	v_lshrrev_b32_e32 v5, 16, v5
	s_nop 0
	v_cndmask_b32_e32 v6, v12, v6, vcc
	v_and_b32_e32 v12, 7, v6
	v_cmp_lt_i32_e32 vcc, 5, v12
	v_cmp_eq_u32_e64 s[0:1], 3, v12
	v_lshrrev_b32_e32 v6, 2, v6
	s_or_b64 vcc, s[0:1], vcc
	v_addc_co_u32_e32 v6, vcc, 0, v6, vcc
	v_cmp_gt_i32_e32 vcc, 31, v11
	s_nop 1
	v_cndmask_b32_e32 v6, v1, v6, vcc
	v_cmp_ne_u32_e32 vcc, 0, v4
	s_nop 1
	v_cndmask_b32_e64 v4, 0, 1, vcc
	v_lshl_or_b32 v4, v4, 9, v1
	v_cmp_eq_u32_e32 vcc, s8, v11
	s_nop 1
	v_cndmask_b32_e32 v4, v6, v4, vcc
	v_and_or_b32 v4, v5, s9, v4
	v_bitop3_b32 v5, v9, s12, v8 bitop3:0xc8
	v_lshl_or_b32 v11, v4, 16, v5
	v_mad_u64_u32 v[4:5], s[0:1], s4, 56, v[2:3]
	v_mov_b32_e32 v6, v5
	v_mul_f16_e32 v5, v37, v10
	v_fma_f16 v5, v7, v13, v5
	v_cvt_f32_f16_e32 v12, v5
	v_mad_u64_u32 v[8:9], s[0:1], s5, 56, v[6:7]
	v_mov_b32_e32 v5, v8
	global_store_dword v[4:5], v11, off
	v_cvt_f64_f32_e32 v[4:5], v12
	v_mul_f64 v[4:5], v[4:5], s[2:3]
	v_and_or_b32 v4, v5, s6, v4
	v_cmp_ne_u32_e32 vcc, 0, v4
	v_lshrrev_b32_e32 v6, 8, v5
	v_bfe_u32 v8, v5, 20, 11
	v_cndmask_b32_e64 v4, 0, 1, vcc
	v_and_or_b32 v4, v6, s7, v4
	v_sub_u32_e32 v9, 0x3f1, v8
	v_or_b32_e32 v6, 0x1000, v4
	v_med3_i32 v9, v9, 0, 13
	v_lshrrev_b32_e32 v11, v9, v6
	v_lshlrev_b32_e32 v9, v9, v11
	v_cmp_ne_u32_e32 vcc, v9, v6
	v_add_u32_e32 v8, 0xfffffc10, v8
	v_lshl_or_b32 v9, v8, 12, v4
	v_cndmask_b32_e64 v6, 0, 1, vcc
	v_or_b32_e32 v6, v11, v6
	v_cmp_gt_i32_e32 vcc, 1, v8
	s_nop 1
	v_cndmask_b32_e32 v6, v9, v6, vcc
	v_and_b32_e32 v9, 7, v6
	v_cmp_lt_i32_e32 vcc, 5, v9
	v_cmp_eq_u32_e64 s[0:1], 3, v9
	v_lshrrev_b32_e32 v6, 2, v6
	s_or_b64 vcc, s[0:1], vcc
	v_mul_f16_e32 v9, v37, v13
	v_addc_co_u32_e32 v6, vcc, 0, v6, vcc
	v_fma_f16 v7, v7, v10, -v9
	v_cmp_gt_i32_e32 vcc, 31, v8
	v_cvt_f32_f16_e32 v7, v7
	s_nop 0
	v_cndmask_b32_e32 v6, v1, v6, vcc
	v_cmp_ne_u32_e32 vcc, 0, v4
	s_nop 1
	v_cndmask_b32_e64 v4, 0, 1, vcc
	v_lshl_or_b32 v4, v4, 9, v1
	v_cmp_eq_u32_e32 vcc, s8, v8
	v_and_b32_sdwa v8, v5, s9 dst_sel:DWORD dst_unused:UNUSED_PAD src0_sel:WORD_1 src1_sel:DWORD
	s_nop 0
	v_cndmask_b32_e32 v6, v6, v4, vcc
	v_cvt_f64_f32_e32 v[4:5], v7
	v_mul_f64 v[4:5], v[4:5], s[2:3]
	v_and_or_b32 v4, v5, s6, v4
	v_cmp_ne_u32_e32 vcc, 0, v4
	v_lshrrev_b32_e32 v7, 8, v5
	v_bfe_u32 v9, v5, 20, 11
	v_cndmask_b32_e64 v4, 0, 1, vcc
	v_and_or_b32 v4, v7, s7, v4
	v_sub_u32_e32 v10, 0x3f1, v9
	v_or_b32_e32 v7, 0x1000, v4
	v_med3_i32 v10, v10, 0, 13
	v_lshrrev_b32_e32 v11, v10, v7
	v_lshlrev_b32_e32 v10, v10, v11
	v_cmp_ne_u32_e32 vcc, v10, v7
	v_add_u32_e32 v9, 0xfffffc10, v9
	v_lshl_or_b32 v10, v9, 12, v4
	v_cndmask_b32_e64 v7, 0, 1, vcc
	v_or_b32_e32 v7, v11, v7
	v_cmp_gt_i32_e32 vcc, 1, v9
	v_lshrrev_b32_e32 v5, 16, v5
	s_nop 0
	v_cndmask_b32_e32 v7, v10, v7, vcc
	v_and_b32_e32 v10, 7, v7
	v_cmp_lt_i32_e32 vcc, 5, v10
	v_cmp_eq_u32_e64 s[0:1], 3, v10
	v_lshrrev_b32_e32 v7, 2, v7
	s_or_b64 vcc, s[0:1], vcc
	v_addc_co_u32_e32 v7, vcc, 0, v7, vcc
	v_cmp_gt_i32_e32 vcc, 31, v9
	s_nop 1
	v_cndmask_b32_e32 v7, v1, v7, vcc
	v_cmp_ne_u32_e32 vcc, 0, v4
	s_nop 1
	v_cndmask_b32_e64 v4, 0, 1, vcc
	v_lshl_or_b32 v4, v4, 9, v1
	v_cmp_eq_u32_e32 vcc, s8, v9
	s_nop 1
	v_cndmask_b32_e32 v4, v7, v4, vcc
	v_and_or_b32 v4, v5, s9, v4
	v_bitop3_b32 v5, v8, s12, v6 bitop3:0xc8
	ds_read_b32 v8, v36 offset:64
	v_lshl_or_b32 v9, v4, 16, v5
	v_mad_u64_u32 v[4:5], s[0:1], s4, 60, v[2:3]
	v_mov_b32_e32 v6, v5
	s_waitcnt lgkmcnt(0)
	v_lshrrev_b32_e32 v10, 16, v8
	v_mul_f16_sdwa v5, v0, v10 dst_sel:DWORD dst_unused:UNUSED_PAD src0_sel:WORD_1 src1_sel:DWORD
	v_fma_f16 v5, v0, v8, v5
	v_cvt_f32_f16_e32 v11, v5
	v_mad_u64_u32 v[6:7], s[0:1], s5, 60, v[6:7]
	v_mov_b32_e32 v5, v6
	global_store_dword v[4:5], v9, off
	v_cvt_f64_f32_e32 v[4:5], v11
	v_mul_f64 v[4:5], v[4:5], s[2:3]
	v_and_or_b32 v4, v5, s6, v4
	v_cmp_ne_u32_e32 vcc, 0, v4
	v_lshrrev_b32_e32 v6, 8, v5
	v_bfe_u32 v7, v5, 20, 11
	v_cndmask_b32_e64 v4, 0, 1, vcc
	v_and_or_b32 v4, v6, s7, v4
	v_sub_u32_e32 v9, 0x3f1, v7
	v_or_b32_e32 v6, 0x1000, v4
	v_med3_i32 v9, v9, 0, 13
	v_lshrrev_b32_e32 v11, v9, v6
	v_lshlrev_b32_e32 v9, v9, v11
	v_cmp_ne_u32_e32 vcc, v9, v6
	v_add_u32_e32 v7, 0xfffffc10, v7
	v_lshl_or_b32 v9, v7, 12, v4
	v_cndmask_b32_e64 v6, 0, 1, vcc
	v_or_b32_e32 v6, v11, v6
	v_cmp_gt_i32_e32 vcc, 1, v7
	v_mul_f16_sdwa v8, v0, v8 dst_sel:DWORD dst_unused:UNUSED_PAD src0_sel:WORD_1 src1_sel:DWORD
	v_fma_f16 v0, v0, v10, -v8
	v_cndmask_b32_e32 v6, v9, v6, vcc
	v_and_b32_e32 v9, 7, v6
	v_cmp_lt_i32_e32 vcc, 5, v9
	v_cmp_eq_u32_e64 s[0:1], 3, v9
	v_lshrrev_b32_e32 v6, 2, v6
	s_or_b64 vcc, s[0:1], vcc
	v_addc_co_u32_e32 v6, vcc, 0, v6, vcc
	v_cmp_gt_i32_e32 vcc, 31, v7
	v_cvt_f32_f16_e32 v0, v0
	s_nop 0
	v_cndmask_b32_e32 v6, v1, v6, vcc
	v_cmp_ne_u32_e32 vcc, 0, v4
	s_nop 1
	v_cndmask_b32_e64 v4, 0, 1, vcc
	v_lshl_or_b32 v4, v4, 9, v1
	v_cmp_eq_u32_e32 vcc, s8, v7
	v_and_b32_sdwa v7, v5, s9 dst_sel:DWORD dst_unused:UNUSED_PAD src0_sel:WORD_1 src1_sel:DWORD
	s_nop 0
	v_cndmask_b32_e32 v6, v6, v4, vcc
	v_cvt_f64_f32_e32 v[4:5], v0
	v_mul_f64 v[4:5], v[4:5], s[2:3]
	v_and_or_b32 v0, v5, s6, v4
	v_cmp_ne_u32_e32 vcc, 0, v0
	v_lshrrev_b32_e32 v4, 8, v5
	v_bfe_u32 v8, v5, 20, 11
	v_cndmask_b32_e64 v0, 0, 1, vcc
	v_and_or_b32 v0, v4, s7, v0
	v_sub_u32_e32 v9, 0x3f1, v8
	v_or_b32_e32 v4, 0x1000, v0
	v_med3_i32 v9, v9, 0, 13
	v_lshrrev_b32_e32 v10, v9, v4
	v_lshlrev_b32_e32 v9, v9, v10
	v_cmp_ne_u32_e32 vcc, v9, v4
	v_add_u32_e32 v8, 0xfffffc10, v8
	v_lshl_or_b32 v9, v8, 12, v0
	v_cndmask_b32_e64 v4, 0, 1, vcc
	v_or_b32_e32 v4, v10, v4
	v_cmp_gt_i32_e32 vcc, 1, v8
	s_nop 1
	v_cndmask_b32_e32 v4, v9, v4, vcc
	v_and_b32_e32 v9, 7, v4
	v_cmp_lt_i32_e32 vcc, 5, v9
	v_cmp_eq_u32_e64 s[0:1], 3, v9
	v_lshrrev_b32_e32 v4, 2, v4
	s_or_b64 vcc, s[0:1], vcc
	v_addc_co_u32_e32 v4, vcc, 0, v4, vcc
	v_cmp_gt_i32_e32 vcc, 31, v8
	s_lshl_b64 s[0:1], s[4:5], 6
	s_nop 0
	v_cndmask_b32_e32 v4, v1, v4, vcc
	v_cmp_ne_u32_e32 vcc, 0, v0
	s_nop 1
	v_cndmask_b32_e64 v0, 0, 1, vcc
	v_lshl_or_b32 v0, v0, 9, v1
	v_cmp_eq_u32_e32 vcc, s8, v8
	v_lshrrev_b32_e32 v1, 16, v5
	s_nop 0
	v_cndmask_b32_e32 v0, v4, v0, vcc
	v_and_or_b32 v0, v1, s9, v0
	v_bitop3_b32 v1, v7, s12, v6 bitop3:0xc8
	v_lshl_or_b32 v4, v0, 16, v1
	v_lshl_add_u64 v[0:1], v[2:3], 0, s[0:1]
	global_store_dword v[0:1], v4, off
.LBB0_2:
	s_endpgm
	.section	.rodata,"a",@progbits
	.p2align	6, 0x0
	.amdhsa_kernel bluestein_single_back_len17_dim1_half_op_CI_CI
		.amdhsa_group_segment_fixed_size 8160
		.amdhsa_private_segment_fixed_size 0
		.amdhsa_kernarg_size 104
		.amdhsa_user_sgpr_count 2
		.amdhsa_user_sgpr_dispatch_ptr 0
		.amdhsa_user_sgpr_queue_ptr 0
		.amdhsa_user_sgpr_kernarg_segment_ptr 1
		.amdhsa_user_sgpr_dispatch_id 0
		.amdhsa_user_sgpr_kernarg_preload_length 0
		.amdhsa_user_sgpr_kernarg_preload_offset 0
		.amdhsa_user_sgpr_private_segment_size 0
		.amdhsa_uses_dynamic_stack 0
		.amdhsa_enable_private_segment 0
		.amdhsa_system_sgpr_workgroup_id_x 1
		.amdhsa_system_sgpr_workgroup_id_y 0
		.amdhsa_system_sgpr_workgroup_id_z 0
		.amdhsa_system_sgpr_workgroup_info 0
		.amdhsa_system_vgpr_workitem_id 0
		.amdhsa_next_free_vgpr 118
		.amdhsa_next_free_sgpr 31
		.amdhsa_accum_offset 120
		.amdhsa_reserve_vcc 1
		.amdhsa_float_round_mode_32 0
		.amdhsa_float_round_mode_16_64 0
		.amdhsa_float_denorm_mode_32 3
		.amdhsa_float_denorm_mode_16_64 3
		.amdhsa_dx10_clamp 1
		.amdhsa_ieee_mode 1
		.amdhsa_fp16_overflow 0
		.amdhsa_tg_split 0
		.amdhsa_exception_fp_ieee_invalid_op 0
		.amdhsa_exception_fp_denorm_src 0
		.amdhsa_exception_fp_ieee_div_zero 0
		.amdhsa_exception_fp_ieee_overflow 0
		.amdhsa_exception_fp_ieee_underflow 0
		.amdhsa_exception_fp_ieee_inexact 0
		.amdhsa_exception_int_div_zero 0
	.end_amdhsa_kernel
	.text
.Lfunc_end0:
	.size	bluestein_single_back_len17_dim1_half_op_CI_CI, .Lfunc_end0-bluestein_single_back_len17_dim1_half_op_CI_CI
                                        ; -- End function
	.section	.AMDGPU.csdata,"",@progbits
; Kernel info:
; codeLenInByte = 21300
; NumSgprs: 37
; NumVgprs: 118
; NumAgprs: 0
; TotalNumVgprs: 118
; ScratchSize: 0
; MemoryBound: 0
; FloatMode: 240
; IeeeMode: 1
; LDSByteSize: 8160 bytes/workgroup (compile time only)
; SGPRBlocks: 4
; VGPRBlocks: 14
; NumSGPRsForWavesPerEU: 37
; NumVGPRsForWavesPerEU: 118
; AccumOffset: 120
; Occupancy: 4
; WaveLimiterHint : 1
; COMPUTE_PGM_RSRC2:SCRATCH_EN: 0
; COMPUTE_PGM_RSRC2:USER_SGPR: 2
; COMPUTE_PGM_RSRC2:TRAP_HANDLER: 0
; COMPUTE_PGM_RSRC2:TGID_X_EN: 1
; COMPUTE_PGM_RSRC2:TGID_Y_EN: 0
; COMPUTE_PGM_RSRC2:TGID_Z_EN: 0
; COMPUTE_PGM_RSRC2:TIDIG_COMP_CNT: 0
; COMPUTE_PGM_RSRC3_GFX90A:ACCUM_OFFSET: 29
; COMPUTE_PGM_RSRC3_GFX90A:TG_SPLIT: 0
	.text
	.p2alignl 6, 3212836864
	.fill 256, 4, 3212836864
	.type	__hip_cuid_759d1c5c247748c2,@object ; @__hip_cuid_759d1c5c247748c2
	.section	.bss,"aw",@nobits
	.globl	__hip_cuid_759d1c5c247748c2
__hip_cuid_759d1c5c247748c2:
	.byte	0                               ; 0x0
	.size	__hip_cuid_759d1c5c247748c2, 1

	.ident	"AMD clang version 19.0.0git (https://github.com/RadeonOpenCompute/llvm-project roc-6.4.0 25133 c7fe45cf4b819c5991fe208aaa96edf142730f1d)"
	.section	".note.GNU-stack","",@progbits
	.addrsig
	.addrsig_sym __hip_cuid_759d1c5c247748c2
	.amdgpu_metadata
---
amdhsa.kernels:
  - .agpr_count:     0
    .args:
      - .actual_access:  read_only
        .address_space:  global
        .offset:         0
        .size:           8
        .value_kind:     global_buffer
      - .actual_access:  read_only
        .address_space:  global
        .offset:         8
        .size:           8
        .value_kind:     global_buffer
      - .actual_access:  read_only
        .address_space:  global
        .offset:         16
        .size:           8
        .value_kind:     global_buffer
      - .actual_access:  read_only
        .address_space:  global
        .offset:         24
        .size:           8
        .value_kind:     global_buffer
      - .actual_access:  read_only
        .address_space:  global
        .offset:         32
        .size:           8
        .value_kind:     global_buffer
      - .offset:         40
        .size:           8
        .value_kind:     by_value
      - .address_space:  global
        .offset:         48
        .size:           8
        .value_kind:     global_buffer
      - .address_space:  global
        .offset:         56
        .size:           8
        .value_kind:     global_buffer
      - .address_space:  global
        .offset:         64
        .size:           8
        .value_kind:     global_buffer
      - .address_space:  global
        .offset:         72
        .size:           8
        .value_kind:     global_buffer
      - .offset:         80
        .size:           4
        .value_kind:     by_value
      - .address_space:  global
        .offset:         88
        .size:           8
        .value_kind:     global_buffer
      - .address_space:  global
        .offset:         96
        .size:           8
        .value_kind:     global_buffer
    .group_segment_fixed_size: 8160
    .kernarg_segment_align: 8
    .kernarg_segment_size: 104
    .language:       OpenCL C
    .language_version:
      - 2
      - 0
    .max_flat_workgroup_size: 120
    .name:           bluestein_single_back_len17_dim1_half_op_CI_CI
    .private_segment_fixed_size: 0
    .sgpr_count:     37
    .sgpr_spill_count: 0
    .symbol:         bluestein_single_back_len17_dim1_half_op_CI_CI.kd
    .uniform_work_group_size: 1
    .uses_dynamic_stack: false
    .vgpr_count:     118
    .vgpr_spill_count: 0
    .wavefront_size: 64
amdhsa.target:   amdgcn-amd-amdhsa--gfx950
amdhsa.version:
  - 1
  - 2
...

	.end_amdgpu_metadata
